;; amdgpu-corpus repo=ROCm/aiter kind=harvested arch=n/a opt=n/a

/root/src/amdgpu-assembly/repos/ROCm__aiter/hsa/gfx942/fmoe_2stages/fmoe_stage1_bf16_pertokenFp8_doweight_g1u1_80x64_2tg_pf2.co:	file format elf64-amdgpu

Disassembly of section .text:

0000000000002a00 <_ZN5aiter56fmoe_stage1_bf16_pertokenFp8_doweight_g1u1_80x64_2tg_pf2E>:
	s_and_b32 s1, s1, 0xffff                                   // 000000002A00: 8601FF01 0000FFFF
	s_load_dwordx2 s[8:9], s[0:1], 0x0                         // 000000002A08: C0060200 00000000
	s_load_dwordx2 s[20:21], s[0:1], 0x10                      // 000000002A10: C0060500 00000010
	s_load_dwordx2 s[24:25], s[0:1], 0x20                      // 000000002A18: C0060600 00000020
	s_load_dwordx2 s[48:49], s[0:1], 0x30                      // 000000002A20: C0060C00 00000030
	s_load_dwordx2 s[28:29], s[0:1], 0x40                      // 000000002A28: C0060700 00000040
	s_load_dwordx2 s[32:33], s[0:1], 0x50                      // 000000002A30: C0060800 00000050
	s_load_dwordx2 s[36:37], s[0:1], 0x60                      // 000000002A38: C0060900 00000060
	s_load_dwordx2 s[12:13], s[0:1], 0x70                      // 000000002A40: C0060300 00000070
	s_load_dwordx2 s[44:45], s[0:1], 0x80                      // 000000002A48: C0060B00 00000080
	s_mov_b32 s89, 0                                           // 000000002A50: BED90080
	s_load_dword s64, s[0:1], 0x90                             // 000000002A54: C0021000 00000090
	s_load_dword s65, s[0:1], 0xa0                             // 000000002A5C: C0021040 000000A0
	s_load_dword s66, s[0:1], 0xb0                             // 000000002A64: C0021080 000000B0
	s_load_dword s67, s[0:1], 0xc0                             // 000000002A6C: C00210C0 000000C0
	s_load_dword s68, s[0:1], 0xd0                             // 000000002A74: C0021100 000000D0
	s_load_dword s69, s[0:1], 0xe0                             // 000000002A7C: C0021140 000000E0
	s_load_dword s71, s[0:1], 0xf0                             // 000000002A84: C00211C0 000000F0
	s_load_dword s72, s[0:1], 0x100                            // 000000002A8C: C0021200 00000100
	s_load_dword s74, s[0:1], 0x110                            // 000000002A94: C0021280 00000110
	s_load_dword s76, s[0:1], 0x120                            // 000000002A9C: C0021300 00000120
	s_load_dword s56, s[0:1], 0x130                            // 000000002AA4: C0020E00 00000130
	s_load_dword s88, s[0:1], 0x140                            // 000000002AAC: C0021600 00000140
	s_load_dword s89, s[0:1], 0x150                            // 000000002AB4: C0021640 00000150
	s_load_dwordx2 s[40:41], s[0:1], 0x160                     // 000000002ABC: C0060A00 00000160
	v_lshrrev_b32_e32 v1, 10, v0                               // 000000002AC4: 2002008A
	v_lshrrev_b32_e32 v2, 10, v1                               // 000000002AC8: 2004028A
	v_and_b32_e32 v2, 0x3ff, v2                                // 000000002ACC: 260404FF 000003FF
	v_and_b32_e32 v1, 0x3ff, v1                                // 000000002AD4: 260202FF 000003FF
	v_and_b32_e32 v0, 0x3ff, v0                                // 000000002ADC: 260000FF 000003FF
	v_lshrrev_b32_e32 v3, 6, v0                                // 000000002AE4: 20060086
	v_and_b32_e32 v0, 63, v0                                   // 000000002AE8: 260000BF
	s_mov_b32 s2, s2                                           // 000000002AEC: BE820002
	s_mov_b32 s3, s3                                           // 000000002AF0: BE830003
	s_mov_b32 s4, s4                                           // 000000002AF4: BE840004
	v_readfirstlane_b32 s7, v3                                 // 000000002AF8: 7E0E0503
	s_waitcnt lgkmcnt(0)                                       // 000000002AFC: BF8CC07F
	s_and_b32 s49, s49, 0xffff                                 // 000000002B00: 8631FF31 0000FFFF
	s_load_dword s48, s[48:49], 0x0                            // 000000002B08: C0020C18 00000000
	s_and_b32 s45, s45, 0xffff                                 // 000000002B10: 862DFF2D 0000FFFF
	s_and_b32 s9, s9, 0xffff                                   // 000000002B18: 8609FF09 0000FFFF
	s_mul_i32 s60, s66, s68                                    // 000000002B20: 923C4442
	s_mul_i32 s61, s66, 4                                      // 000000002B24: 923D8442
	s_mov_b32 s22, s60                                         // 000000002B28: BE96003C
	s_mov_b32 s26, -16                                         // 000000002B2C: BE9A00D0
	s_mov_b32 s30, s61                                         // 000000002B30: BE9E003D
	s_mov_b32 s14, 0x140                                       // 000000002B34: BE8E00FF 00000140
	s_mov_b32 s38, -16                                         // 000000002B3C: BEA600D0
	s_mov_b32 s10, -16                                         // 000000002B40: BE8A00D0
	s_mov_b32 s34, 0x100                                       // 000000002B44: BEA200FF 00000100
	s_mov_b32 s23, 0x20000                                     // 000000002B4C: BE9700FF 00020000
	s_mov_b32 s27, 0x20000                                     // 000000002B54: BE9B00FF 00020000
	s_mov_b32 s31, 0x20000                                     // 000000002B5C: BE9F00FF 00020000
	s_mov_b32 s35, 0x20000                                     // 000000002B64: BEA300FF 00020000
	s_mov_b32 s15, 0x20000                                     // 000000002B6C: BE8F00FF 00020000
	s_mov_b32 s39, 0x20000                                     // 000000002B74: BEA700FF 00020000
	s_mov_b32 s11, 0x20000                                     // 000000002B7C: BE8B00FF 00020000
	s_and_b32 s21, s21, 0xffff                                 // 000000002B84: 8615FF15 0000FFFF
	s_and_b32 s25, s25, 0xffff                                 // 000000002B8C: 8619FF19 0000FFFF
	s_and_b32 s29, s29, 0xffff                                 // 000000002B94: 861DFF1D 0000FFFF
	s_and_b32 s33, s33, 0xffff                                 // 000000002B9C: 8621FF21 0000FFFF
	s_and_b32 s13, s13, 0xffff                                 // 000000002BA4: 860DFF0D 0000FFFF
	s_and_b32 s37, s37, 0xffff                                 // 000000002BAC: 8625FF25 0000FFFF
	s_or_b32 s21, s21, 0x40000                                 // 000000002BB4: 8715FF15 00040000
	s_or_b32 s25, s25, 0x40000                                 // 000000002BBC: 8719FF19 00040000
	s_or_b32 s29, s29, 0x40000                                 // 000000002BC4: 871DFF1D 00040000
	s_or_b32 s33, s33, 0x40000                                 // 000000002BCC: 8721FF21 00040000
	s_or_b32 s13, s13, 0x40000                                 // 000000002BD4: 870DFF0D 00040000
	s_or_b32 s37, s37, 0x40000                                 // 000000002BDC: 8725FF25 00040000
	s_mov_b32 s42, -16                                         // 000000002BE4: BEAA00D0
	s_mov_b32 s43, 0x20000                                     // 000000002BE8: BEAB00FF 00020000
	s_and_b32 s41, s41, 0xffff                                 // 000000002BF0: 8629FF29 0000FFFF
	s_or_b32 s41, s41, 0x40000                                 // 000000002BF8: 8729FF29 00040000
	v_accvgpr_write_b32 a95, 0                                 // 000000002C00: D3D9405F 18000080
	v_mov_b32_e32 v104, 0                                      // 000000002C08: 7ED00280
	s_waitcnt lgkmcnt(0)                                       // 000000002C0C: BF8CC07F
	s_mul_i32 s60, s3, 0x50                                    // 000000002C10: 923CFF03 00000050
	s_cmp_lt_i32 s60, s48                                      // 000000002C18: BF04303C
	s_cbranch_scc0 label_167B                                  // 000000002C1C: BF8415F0
	s_mov_b32 s80, 0                                           // 000000002C20: BED00080
	s_lshr_b32 s81, s64, s88                                   // 000000002C24: 8F515840
	s_mul_i32 s60, s3, 4                                       // 000000002C28: 923C8403
	s_add_u32 s44, s60, s44                                    // 000000002C2C: 802C2C3C
	s_addc_u32 s45, 0, s45                                     // 000000002C30: 822D2D80
	s_load_dword s5, s[44:45], 0x0                             // 000000002C34: C0020156 00000000
	s_mul_i32 s60, s3, 0x50                                    // 000000002C3C: 923CFF03 00000050
	s_mul_i32 s60, 4, s60                                      // 000000002C44: 923C3C84
	s_add_u32 s12, s60, s12                                    // 000000002C48: 800C0C3C
	s_addc_u32 s13, 0, s13                                     // 000000002C4C: 820D0D80
	v_and_b32_e32 v4, 15, v0                                   // 000000002C50: 2608008F
	v_lshlrev_b32_e32 v4, 2, v4                                // 000000002C54: 24080882
	buffer_load_dword v28, v4, s[12:15], 0 offen               // 000000002C58: E0501000 80031C04
	v_add_u32_e32 v4, 64, v4                                   // 000000002C60: 680808C0
	buffer_load_dword v29, v4, s[12:15], 0 offen               // 000000002C64: E0501000 80031D04
	v_add_u32_e32 v4, 64, v4                                   // 000000002C6C: 680808C0
	buffer_load_dword v30, v4, s[12:15], 0 offen               // 000000002C70: E0501000 80031E04
	v_add_u32_e32 v4, 64, v4                                   // 000000002C78: 680808C0
	buffer_load_dword v31, v4, s[12:15], 0 offen               // 000000002C7C: E0501000 80031F04
	v_add_u32_e32 v4, 64, v4                                   // 000000002C84: 680808C0
	buffer_load_dword v32, v4, s[12:15], 0 offen               // 000000002C88: E0501000 80032004
	v_add_u32_e32 v4, 64, v4                                   // 000000002C90: 680808C0
	s_mul_i32 s60, 4, s7                                       // 000000002C94: 923C0784
	v_lshlrev_b32_e32 v4, 4, v0                                // 000000002C98: 24080084
	v_add_u32_e32 v4, s60, v4                                  // 000000002C9C: 6808083C
	buffer_load_dword v3, v4, s[12:15], 0 offen                // 000000002CA0: E0501000 80030304
	v_mov_b32_e32 v60, 0                                       // 000000002CA8: 7E780280
	v_mov_b32_e32 v80, 0                                       // 000000002CAC: 7EA00280
	v_mov_b32_e32 v61, 0                                       // 000000002CB0: 7E7A0280
	v_mov_b32_e32 v81, 0                                       // 000000002CB4: 7EA20280
	v_mov_b32_e32 v62, 0                                       // 000000002CB8: 7E7C0280
	v_mov_b32_e32 v82, 0                                       // 000000002CBC: 7EA40280
	v_mov_b32_e32 v63, 0                                       // 000000002CC0: 7E7E0280
	v_mov_b32_e32 v83, 0                                       // 000000002CC4: 7EA60280
	v_mov_b32_e32 v64, 0                                       // 000000002CC8: 7E800280
	v_mov_b32_e32 v84, 0                                       // 000000002CCC: 7EA80280
	v_mov_b32_e32 v65, 0                                       // 000000002CD0: 7E820280
	v_mov_b32_e32 v85, 0                                       // 000000002CD4: 7EAA0280
	v_mov_b32_e32 v66, 0                                       // 000000002CD8: 7E840280
	v_mov_b32_e32 v86, 0                                       // 000000002CDC: 7EAC0280
	v_mov_b32_e32 v67, 0                                       // 000000002CE0: 7E860280
	v_mov_b32_e32 v87, 0                                       // 000000002CE4: 7EAE0280
	v_mov_b32_e32 v68, 0                                       // 000000002CE8: 7E880280
	v_mov_b32_e32 v88, 0                                       // 000000002CEC: 7EB00280
	v_mov_b32_e32 v69, 0                                       // 000000002CF0: 7E8A0280
	v_mov_b32_e32 v89, 0                                       // 000000002CF4: 7EB20280
	v_mov_b32_e32 v70, 0                                       // 000000002CF8: 7E8C0280
	v_mov_b32_e32 v90, 0                                       // 000000002CFC: 7EB40280
	v_mov_b32_e32 v71, 0                                       // 000000002D00: 7E8E0280
	v_mov_b32_e32 v91, 0                                       // 000000002D04: 7EB60280
	v_mov_b32_e32 v72, 0                                       // 000000002D08: 7E900280
	v_mov_b32_e32 v92, 0                                       // 000000002D0C: 7EB80280
	v_mov_b32_e32 v73, 0                                       // 000000002D10: 7E920280
	v_mov_b32_e32 v93, 0                                       // 000000002D14: 7EBA0280
	v_mov_b32_e32 v74, 0                                       // 000000002D18: 7E940280
	v_mov_b32_e32 v94, 0                                       // 000000002D1C: 7EBC0280
	v_mov_b32_e32 v75, 0                                       // 000000002D20: 7E960280
	v_mov_b32_e32 v95, 0                                       // 000000002D24: 7EBE0280
	v_mov_b32_e32 v76, 0                                       // 000000002D28: 7E980280
	v_mov_b32_e32 v96, 0                                       // 000000002D2C: 7EC00280
	v_mov_b32_e32 v77, 0                                       // 000000002D30: 7E9A0280
	v_mov_b32_e32 v97, 0                                       // 000000002D34: 7EC20280
	v_mov_b32_e32 v78, 0                                       // 000000002D38: 7E9C0280
	v_mov_b32_e32 v98, 0                                       // 000000002D3C: 7EC40280
	v_mov_b32_e32 v79, 0                                       // 000000002D40: 7E9E0280
	v_mov_b32_e32 v99, 0                                       // 000000002D44: 7EC60280
	s_mul_i32 s60, s2, 0x80                                    // 000000002D48: 923CFF02 00000080
	s_cmp_eq_u32 s88, 0                                        // 000000002D50: BF068058
	s_cselect_b32 s61, 1, 2                                    // 000000002D54: 853D8281
	s_mul_i32 s60, s60, s61                                    // 000000002D58: 923C3D3C
	s_mov_b32 s90, s8                                          // 000000002D5C: BEDA0008
	s_mov_b32 s91, s9                                          // 000000002D60: BEDB0009
	s_add_u32 s8, s60, s8                                      // 000000002D64: 8008083C
	s_addc_u32 s9, 0, s9                                       // 000000002D68: 82090980
	v_lshrrev_b32_e32 v4, 4, v0                                // 000000002D6C: 20080084
	v_mul_lo_u32 v20, 34, v4                                   // 000000002D70: D2850014 000208A2
	v_and_b32_e32 v4, 15, v0                                   // 000000002D78: 2608008F
	v_mul_lo_u32 v5, 2, v4                                     // 000000002D7C: D2850005 00020882
	v_add_u32_e32 v20, v5, v20                                 // 000000002D84: 68282905
	s_mul_i32 s60, s7, 0x88                                    // 000000002D88: 923CFF07 00000088
	v_add_u32_e32 v20, s60, v20                                // 000000002D90: 6828283C
	v_lshlrev_b32_e32 v20, 2, v20                              // 000000002D94: 24282882
	v_and_b32_e32 v4, 31, v0                                   // 000000002D98: 2608009F
	v_lshrrev_b32_e32 v4, 1, v4                                // 000000002D9C: 20080881
	v_mul_lo_u32 v21, 34, v4                                   // 000000002DA0: D2850015 000208A2
	v_lshrrev_b32_e32 v4, 5, v0                                // 000000002DA8: 20080085
	v_mul_lo_u32 v4, 8, v4                                     // 000000002DAC: D2850004 00020888
	v_add_u32_e32 v21, v21, v4                                 // 000000002DB4: 682A0915
	v_and_b32_e32 v5, 1, v0                                    // 000000002DB8: 260A0081
	v_add_u32_e32 v21, v5, v21                                 // 000000002DBC: 682A2B05
	s_mul_i32 s60, s7, 2                                       // 000000002DC0: 923C8207
	v_add_u32_e32 v21, s60, v21                                // 000000002DC4: 682A2A3C
	v_lshlrev_b32_e32 v21, 2, v21                              // 000000002DC8: 242A2A82
	s_mul_i32 s60, s7, 0xa20                                   // 000000002DCC: 923CFF07 00000A20
	s_add_u32 s48, 0, s60                                      // 000000002DD4: 80303C80
	s_add_u32 s49, 0x2880, s48                                 // 000000002DD8: 803130FF 00002880
	v_lshrrev_b32_e32 v4, 4, v0                                // 000000002DE0: 20080084
	v_lshlrev_b32_e32 v5, 2, v4                                // 000000002DE4: 240A0882
	v_and_b32_e32 v4, 15, v0                                   // 000000002DE8: 2608008F
	v_lshrrev_b32_e32 v6, 2, v4                                // 000000002DEC: 200C0882
	v_lshlrev_b32_e32 v6, 5, v6                                // 000000002DF0: 240C0C85
	v_add_u32_e32 v5, v6, v5                                   // 000000002DF4: 680A0B06
	v_and_b32_e32 v4, 3, v0                                    // 000000002DF8: 26080083
	v_mul_u32_u24_e32 v6, 0x288, v4                            // 000000002DFC: 100C08FF 00000288
	v_add_u32_e32 v5, v6, v5                                   // 000000002E04: 680A0B06
	v_lshlrev_b32_e32 v2, 2, v5                                // 000000002E08: 24040A82
	s_waitcnt lgkmcnt(0)                                       // 000000002E0C: BF8CC07F
	s_mul_i32 s60, s2, 64                                      // 000000002E10: 923CC002
	s_mul_i32 s60, s60, s69                                    // 000000002E14: 923C453C
	s_mul_i32 s61, s5, s72                                     // 000000002E18: 923D4805
	s_add_u32 s60, s61, s60                                    // 000000002E1C: 803C3C3D
	s_add_u32 s24, s60, s24                                    // 000000002E20: 8018183C
	s_addc_u32 s25, 0, s25                                     // 000000002E24: 82191980
	s_lshr_b32 s60, s64, s88                                   // 000000002E28: 8F3C5840
	s_mul_i32 s60, s4, s60                                     // 000000002E2C: 923C3C04
	s_lshr_b32 s60, s60, 7                                     // 000000002E30: 8F3C873C
	s_mul_i32 s60, s60, 0x800                                  // 000000002E34: 923CFF3C 00000800
	s_add_u32 s24, s60, s24                                    // 000000002E3C: 8018183C
	s_addc_u32 s25, 0, s25                                     // 000000002E40: 82191980
	s_lshr_b32 s60, s69, s88                                   // 000000002E44: 8F3C5845
	s_mul_i32 s60, s4, s60                                     // 000000002E48: 923C3C04
	s_add_u32 s20, s60, s20                                    // 000000002E4C: 8014143C
	s_addc_u32 s21, 0, s21                                     // 000000002E50: 82151580
	s_mul_i32 s60, s7, 16                                      // 000000002E54: 923C9007
	s_mul_i32 s60, s60, s69                                    // 000000002E58: 923C453C
	v_lshlrev_b32_e32 v58, 4, v0                               // 000000002E5C: 24740084
	v_add_u32_e32 v58, s60, v58                                // 000000002E60: 6874743C
	s_mul_i32 s60, 64, s69                                     // 000000002E64: 923C45C0
	s_mov_b32 s84, s24                                         // 000000002E68: BED40018
	s_mov_b32 s85, s25                                         // 000000002E6C: BED50019
	s_mov_b32 s86, s26                                         // 000000002E70: BED6001A
	s_mov_b32 s87, s27                                         // 000000002E74: BED7001B
	s_mul_i32 s60, s69, s65                                    // 000000002E78: 923C4145
	s_add_u32 s84, s60, s84                                    // 000000002E7C: 8054543C
	s_addc_u32 s85, 0, s85                                     // 000000002E80: 82555580
	v_lshrrev_b32_e32 v4, 4, v0                                // 000000002E84: 20080084
	v_lshlrev_b32_e32 v5, 2, v4                                // 000000002E88: 240A0882
	v_and_b32_e32 v4, 15, v0                                   // 000000002E8C: 2608008F
	v_lshrrev_b32_e32 v6, 2, v4                                // 000000002E90: 200C0882
	v_lshlrev_b32_e32 v6, 6, v6                                // 000000002E94: 240C0C86
	v_add_u32_e32 v5, v6, v5                                   // 000000002E98: 680A0B06
	v_and_b32_e32 v4, 3, v0                                    // 000000002E9C: 26080083
	v_add_u32_e32 v5, v4, v5                                   // 000000002EA0: 680A0B04
	v_lshlrev_b32_e32 v22, 2, v5                               // 000000002EA4: 242C0A82
	s_mul_i32 s60, s7, 16                                      // 000000002EA8: 923C9007
	s_mul_i32 s60, s60, 4                                      // 000000002EAC: 923C843C
	v_add_u32_e32 v22, s60, v22                                // 000000002EB0: 682C2C3C
	s_mul_i32 s60, s2, 64                                      // 000000002EB4: 923CC002
	s_mul_i32 s60, s60, 4                                      // 000000002EB8: 923C843C
	s_mul_i32 s61, s5, s74                                     // 000000002EBC: 923D4A05
	s_add_u32 s61, s61, s60                                    // 000000002EC0: 803D3C3D
	s_add_u32 s32, s61, s32                                    // 000000002EC4: 8020203D
	s_addc_u32 s33, 0, s33                                     // 000000002EC8: 82212180
	s_mov_b32 s57, 0x80                                        // 000000002ECC: BEB900FF 00000080
	s_mov_b32 s58, 0x800                                       // 000000002ED4: BEBA00FF 00000800
	s_mov_b32 s83, s58                                         // 000000002EDC: BED3003A
	s_mov_b32 s52, 0x7060302                                   // 000000002EE0: BEB400FF 07060302
	s_mov_b32 s53, 0x400                                       // 000000002EE8: BEB500FF 00000400
	s_mov_b32 s54, 0x40100                                     // 000000002EF0: BEB600FF 00040100
	s_mov_b32 s55, 0x4020100                                   // 000000002EF8: BEB700FF 04020100
	s_mov_b32 s6, 0x3fb8aa3b                                   // 000000002F00: BE8600FF 3FB8AA3B
	s_mov_b32 s78, 0xbd92220c                                  // 000000002F08: BECE00FF BD92220C
	s_mov_b32 s79, 0xbd92220c                                  // 000000002F10: BECF00FF BD92220C
	s_mov_b32 m0, s48                                          // 000000002F18: BEFC0030
	v_mov_b32_e32 v1, 0xbfcc4231                               // 000000002F1C: 7E0202FF BFCC4231
	v_mov_b32_e32 v17, 0xffff0000                              // 000000002F24: 7E2202FF FFFF0000
	v_mov_b32_e32 v18, 0x7fff0000                              // 000000002F2C: 7E2402FF 7FFF0000
	v_mov_b32_e32 v19, 0x7fff                                  // 000000002F34: 7E2602FF 00007FFF
	s_waitcnt vmcnt(0) expcnt(0) lgkmcnt(0)                    // 000000002F3C: BF8C0000
	s_mul_i32 s60, s3, 0x50                                    // 000000002F40: 923CFF03 00000050
	s_mul_i32 s60, 4, s60                                      // 000000002F48: 923C3C84
	s_add_u32 s40, s60, s40                                    // 000000002F4C: 8028283C
	s_addc_u32 s41, 0, s41                                     // 000000002F50: 82292980
	v_and_b32_e32 v4, 15, v0                                   // 000000002F54: 2608008F
	v_lshlrev_b32_e32 v4, 2, v4                                // 000000002F58: 24080882
	buffer_load_dword v100, v4, s[40:43], 0 offen              // 000000002F5C: E0501000 800A6404
	buffer_load_dword v101, v4, s[40:43], 0 offen offset:64    // 000000002F64: E0501040 800A6504
	buffer_load_dword v102, v4, s[40:43], 0 offen offset:128   // 000000002F6C: E0501080 800A6604
	buffer_load_dword v103, v4, s[40:43], 0 offen offset:192   // 000000002F74: E05010C0 800A6704
	buffer_load_dword v104, v4, s[40:43], 0 offen offset:256   // 000000002F7C: E0501100 800A6804
	v_lshrrev_b32_e32 v4, 5, v0                                // 000000002F84: 20080085
	v_xor_b32_e32 v5, 1, v4                                    // 000000002F88: 2A0A0881
	v_readlane_b32 s82, v3, 0                                  // 000000002F8C: D2890052 00010103
	s_and_b32 s82, s82, 0xffffff                               // 000000002F94: 8652FF52 00FFFFFF
	v_mul_lo_u32 v6, v5, s82                                   // 000000002F9C: D2850006 0000A505
	v_readlane_b32 s82, v3, 1                                  // 000000002FA4: D2890052 00010303
	s_and_b32 s82, s82, 0xffffff                               // 000000002FAC: 8652FF52 00FFFFFF
	v_mul_lo_u32 v7, v4, s82                                   // 000000002FB4: D2850007 0000A504
	v_add_u32_e32 v48, v6, v7                                  // 000000002FBC: 68600F06
	v_mul_lo_u32 v48, v48, s68                                 // 000000002FC0: D2850030 00008930
	v_readlane_b32 s82, v3, 2                                  // 000000002FC8: D2890052 00010503
	s_and_b32 s82, s82, 0xffffff                               // 000000002FD0: 8652FF52 00FFFFFF
	v_mul_lo_u32 v6, v5, s82                                   // 000000002FD8: D2850006 0000A505
	v_readlane_b32 s82, v3, 3                                  // 000000002FE0: D2890052 00010703
	s_and_b32 s82, s82, 0xffffff                               // 000000002FE8: 8652FF52 00FFFFFF
	v_mul_lo_u32 v7, v4, s82                                   // 000000002FF0: D2850007 0000A504
	v_add_u32_e32 v49, v6, v7                                  // 000000002FF8: 68620F06
	v_mul_lo_u32 v49, v49, s68                                 // 000000002FFC: D2850031 00008931
	v_readlane_b32 s82, v3, 4                                  // 000000003004: D2890052 00010903
	s_and_b32 s82, s82, 0xffffff                               // 00000000300C: 8652FF52 00FFFFFF
	v_mul_lo_u32 v6, v5, s82                                   // 000000003014: D2850006 0000A505
	v_readlane_b32 s82, v3, 5                                  // 00000000301C: D2890052 00010B03
	s_and_b32 s82, s82, 0xffffff                               // 000000003024: 8652FF52 00FFFFFF
	v_mul_lo_u32 v7, v4, s82                                   // 00000000302C: D2850007 0000A504
	v_add_u32_e32 v50, v6, v7                                  // 000000003034: 68640F06
	v_mul_lo_u32 v50, v50, s68                                 // 000000003038: D2850032 00008932
	v_readlane_b32 s82, v3, 6                                  // 000000003040: D2890052 00010D03
	s_and_b32 s82, s82, 0xffffff                               // 000000003048: 8652FF52 00FFFFFF
	v_mul_lo_u32 v6, v5, s82                                   // 000000003050: D2850006 0000A505
	v_readlane_b32 s82, v3, 7                                  // 000000003058: D2890052 00010F03
	s_and_b32 s82, s82, 0xffffff                               // 000000003060: 8652FF52 00FFFFFF
	v_mul_lo_u32 v7, v4, s82                                   // 000000003068: D2850007 0000A504
	v_add_u32_e32 v51, v6, v7                                  // 000000003070: 68660F06
	v_mul_lo_u32 v51, v51, s68                                 // 000000003074: D2850033 00008933
	v_readlane_b32 s82, v3, 8                                  // 00000000307C: D2890052 00011103
	s_and_b32 s82, s82, 0xffffff                               // 000000003084: 8652FF52 00FFFFFF
	v_mul_lo_u32 v6, v5, s82                                   // 00000000308C: D2850006 0000A505
	v_readlane_b32 s82, v3, 9                                  // 000000003094: D2890052 00011303
	s_and_b32 s82, s82, 0xffffff                               // 00000000309C: 8652FF52 00FFFFFF
	v_mul_lo_u32 v7, v4, s82                                   // 0000000030A4: D2850007 0000A504
	v_add_u32_e32 v52, v6, v7                                  // 0000000030AC: 68680F06
	v_mul_lo_u32 v52, v52, s68                                 // 0000000030B0: D2850034 00008934
	v_readlane_b32 s82, v3, 10                                 // 0000000030B8: D2890052 00011503
	s_and_b32 s82, s82, 0xffffff                               // 0000000030C0: 8652FF52 00FFFFFF
	v_mul_lo_u32 v6, v5, s82                                   // 0000000030C8: D2850006 0000A505
	v_readlane_b32 s82, v3, 11                                 // 0000000030D0: D2890052 00011703
	s_and_b32 s82, s82, 0xffffff                               // 0000000030D8: 8652FF52 00FFFFFF
	v_mul_lo_u32 v7, v4, s82                                   // 0000000030E0: D2850007 0000A504
	v_add_u32_e32 v53, v6, v7                                  // 0000000030E8: 686A0F06
	v_mul_lo_u32 v53, v53, s68                                 // 0000000030EC: D2850035 00008935
	v_readlane_b32 s82, v3, 12                                 // 0000000030F4: D2890052 00011903
	s_and_b32 s82, s82, 0xffffff                               // 0000000030FC: 8652FF52 00FFFFFF
	v_mul_lo_u32 v6, v5, s82                                   // 000000003104: D2850006 0000A505
	v_readlane_b32 s82, v3, 13                                 // 00000000310C: D2890052 00011B03
	s_and_b32 s82, s82, 0xffffff                               // 000000003114: 8652FF52 00FFFFFF
	v_mul_lo_u32 v7, v4, s82                                   // 00000000311C: D2850007 0000A504
	v_add_u32_e32 v54, v6, v7                                  // 000000003124: 686C0F06
	v_mul_lo_u32 v54, v54, s68                                 // 000000003128: D2850036 00008936
	v_readlane_b32 s82, v3, 14                                 // 000000003130: D2890052 00011D03
	s_and_b32 s82, s82, 0xffffff                               // 000000003138: 8652FF52 00FFFFFF
	v_mul_lo_u32 v6, v5, s82                                   // 000000003140: D2850006 0000A505
	v_readlane_b32 s82, v3, 15                                 // 000000003148: D2890052 00011F03
	s_and_b32 s82, s82, 0xffffff                               // 000000003150: 8652FF52 00FFFFFF
	v_mul_lo_u32 v7, v4, s82                                   // 000000003158: D2850007 0000A504
	v_add_u32_e32 v55, v6, v7                                  // 000000003160: 686E0F06
	v_mul_lo_u32 v55, v55, s68                                 // 000000003164: D2850037 00008937
	v_readlane_b32 s82, v3, 16                                 // 00000000316C: D2890052 00012103
	s_and_b32 s82, s82, 0xffffff                               // 000000003174: 8652FF52 00FFFFFF
	v_mul_lo_u32 v6, v5, s82                                   // 00000000317C: D2850006 0000A505
	v_readlane_b32 s82, v3, 17                                 // 000000003184: D2890052 00012303
	s_and_b32 s82, s82, 0xffffff                               // 00000000318C: 8652FF52 00FFFFFF
	v_mul_lo_u32 v7, v4, s82                                   // 000000003194: D2850007 0000A504
	v_add_u32_e32 v56, v6, v7                                  // 00000000319C: 68700F06
	v_mul_lo_u32 v56, v56, s68                                 // 0000000031A0: D2850038 00008938
	v_readlane_b32 s82, v3, 18                                 // 0000000031A8: D2890052 00012503
	s_and_b32 s82, s82, 0xffffff                               // 0000000031B0: 8652FF52 00FFFFFF
	v_mul_lo_u32 v6, v5, s82                                   // 0000000031B8: D2850006 0000A505
	v_readlane_b32 s82, v3, 19                                 // 0000000031C0: D2890052 00012703
	s_and_b32 s82, s82, 0xffffff                               // 0000000031C8: 8652FF52 00FFFFFF
	v_mul_lo_u32 v7, v4, s82                                   // 0000000031D0: D2850007 0000A504
	v_add_u32_e32 v57, v6, v7                                  // 0000000031D8: 68720F06
	v_mul_lo_u32 v57, v57, s68                                 // 0000000031DC: D2850039 00008939
	v_and_b32_e32 v4, 31, v0                                   // 0000000031E4: 2608009F
	v_lshlrev_b32_e32 v4, 2, v4                                // 0000000031E8: 24080882
	v_add_u32_e32 v48, v48, v4                                 // 0000000031EC: 68600930
	v_add_u32_e32 v49, v49, v4                                 // 0000000031F0: 68620931
	v_add_u32_e32 v50, v50, v4                                 // 0000000031F4: 68640932
	v_add_u32_e32 v51, v51, v4                                 // 0000000031F8: 68660933
	v_add_u32_e32 v52, v52, v4                                 // 0000000031FC: 68680934
	v_add_u32_e32 v53, v53, v4                                 // 000000003200: 686A0935
	v_add_u32_e32 v54, v54, v4                                 // 000000003204: 686C0936
	v_add_u32_e32 v55, v55, v4                                 // 000000003208: 686E0937
	v_add_u32_e32 v56, v56, v4                                 // 00000000320C: 68700938
	v_add_u32_e32 v57, v57, v4                                 // 000000003210: 68720939
	v_and_b32_e32 v28, 0xffffff, v28                           // 000000003214: 263838FF 00FFFFFF
	v_lshlrev_b32_e32 v28, 2, v28                              // 00000000321C: 24383882
	v_and_b32_e32 v29, 0xffffff, v29                           // 000000003220: 263A3AFF 00FFFFFF
	v_lshlrev_b32_e32 v29, 2, v29                              // 000000003228: 243A3A82
	v_and_b32_e32 v30, 0xffffff, v30                           // 00000000322C: 263C3CFF 00FFFFFF
	v_lshlrev_b32_e32 v30, 2, v30                              // 000000003234: 243C3C82
	v_and_b32_e32 v31, 0xffffff, v31                           // 000000003238: 263E3EFF 00FFFFFF
	v_lshlrev_b32_e32 v31, 2, v31                              // 000000003240: 243E3E82
	v_and_b32_e32 v32, 0xffffff, v32                           // 000000003244: 264040FF 00FFFFFF
	v_lshlrev_b32_e32 v32, 2, v32                              // 00000000324C: 24404082
	s_lshl_b32 s3, s66, 2                                      // 000000003250: 8E038242
	buffer_load_dword v33, v28, s[28:31], 0 offen              // 000000003254: E0501000 8007211C
	buffer_load_dword v34, v29, s[28:31], 0 offen              // 00000000325C: E0501000 8007221D
	buffer_load_dword v35, v30, s[28:31], 0 offen              // 000000003264: E0501000 8007231E
	buffer_load_dword v36, v31, s[28:31], 0 offen              // 00000000326C: E0501000 8007241F
	buffer_load_dword v37, v32, s[28:31], 0 offen              // 000000003274: E0501000 80072520
	buffer_load_dword v24, v22, s[32:35], 0 offen              // 00000000327C: E0501000 80081816
	s_mul_i32 s60, 4, s65                                      // 000000003284: 923C4184
	s_add_u32 s32, s60, s32                                    // 000000003288: 8020203C
	s_addc_u32 s33, 0, s33                                     // 00000000328C: 82212180
	buffer_load_dword v26, v22, s[32:35], 0 offen              // 000000003290: E0501000 80081A16
	buffer_load_dword v48, s[20:23], 0 offen lds               // 000000003298: E0511000 80050030
	s_add_u32 m0, 0x100, s48                                   // 0000000032A0: 807C30FF 00000100
	buffer_load_dword v49, s[20:23], 0 offen lds               // 0000000032A8: E0511000 80050031
	s_add_u32 m0, 0x200, s48                                   // 0000000032B0: 807C30FF 00000200
	buffer_load_dword v50, s[20:23], 0 offen lds               // 0000000032B8: E0511000 80050032
	s_add_u32 m0, 0x300, s48                                   // 0000000032C0: 807C30FF 00000300
	buffer_load_dword v51, s[20:23], 0 offen lds               // 0000000032C8: E0511000 80050033
	s_add_u32 m0, 0x400, s48                                   // 0000000032D0: 807C30FF 00000400
	buffer_load_dword v52, s[20:23], 0 offen lds               // 0000000032D8: E0511000 80050034
	s_add_u32 m0, 0x500, s48                                   // 0000000032E0: 807C30FF 00000500
	buffer_load_dword v53, s[20:23], 0 offen lds               // 0000000032E8: E0511000 80050035
	s_add_u32 m0, 0x600, s48                                   // 0000000032F0: 807C30FF 00000600
	buffer_load_dword v54, s[20:23], 0 offen lds               // 0000000032F8: E0511000 80050036
	s_add_u32 m0, 0x700, s48                                   // 000000003300: 807C30FF 00000700
	buffer_load_dword v55, s[20:23], 0 offen lds               // 000000003308: E0511000 80050037
	s_add_u32 m0, 0x800, s48                                   // 000000003310: 807C30FF 00000800
	buffer_load_dword v56, s[20:23], 0 offen lds               // 000000003318: E0511000 80050038
	;; [unrolled: 2-line block ×3, first 2 shown]
	s_add_u32 m0, 0, s49                                       // 000000003330: 807C3180
	s_add_u32 s20, s57, s20                                    // 000000003334: 80141439
	s_addc_u32 s21, 0, s21                                     // 000000003338: 82151580
	buffer_load_dword v48, s[20:23], 0 offen lds               // 00000000333C: E0511000 80050030
	s_add_u32 m0, 0x100, s49                                   // 000000003344: 807C31FF 00000100
	buffer_load_dword v49, s[20:23], 0 offen lds               // 00000000334C: E0511000 80050031
	s_add_u32 m0, 0x200, s49                                   // 000000003354: 807C31FF 00000200
	buffer_load_dword v50, s[20:23], 0 offen lds               // 00000000335C: E0511000 80050032
	s_add_u32 m0, 0x300, s49                                   // 000000003364: 807C31FF 00000300
	buffer_load_dword v51, s[20:23], 0 offen lds               // 00000000336C: E0511000 80050033
	s_add_u32 m0, 0x400, s49                                   // 000000003374: 807C31FF 00000400
	buffer_load_dword v52, s[20:23], 0 offen lds               // 00000000337C: E0511000 80050034
	s_add_u32 m0, 0x500, s49                                   // 000000003384: 807C31FF 00000500
	buffer_load_dword v53, s[20:23], 0 offen lds               // 00000000338C: E0511000 80050035
	s_add_u32 m0, 0x600, s49                                   // 000000003394: 807C31FF 00000600
	buffer_load_dword v54, s[20:23], 0 offen lds               // 00000000339C: E0511000 80050036
	s_add_u32 m0, 0x700, s49                                   // 0000000033A4: 807C31FF 00000700
	buffer_load_dword v55, s[20:23], 0 offen lds               // 0000000033AC: E0511000 80050037
	s_add_u32 m0, 0x800, s49                                   // 0000000033B4: 807C31FF 00000800
	buffer_load_dword v56, s[20:23], 0 offen lds               // 0000000033BC: E0511000 80050038
	s_add_u32 m0, 0x900, s49                                   // 0000000033C4: 807C31FF 00000900
	buffer_load_dword v57, s[20:23], 0 offen lds               // 0000000033CC: E0511000 80050039
	s_add_u32 m0, 0, s48                                       // 0000000033D4: 807C3080
	s_add_u32 s20, s57, s20                                    // 0000000033D8: 80141439
	s_addc_u32 s21, 0, s21                                     // 0000000033DC: 82151580
	buffer_load_dwordx4 a[80:83], v58, s[24:27], 0 offen       // 0000000033E0: E05C1000 8086503A
	buffer_load_dwordx4 a[84:87], v58, s[24:27], 0 offen offset:1024// 0000000033E8: E05C1400 8086543A
	s_add_u32 s24, s58, s24                                    // 0000000033F0: 8018183A
	s_addc_u32 s25, 0, s25                                     // 0000000033F4: 82191980
	s_waitcnt vmcnt(12)                                        // 0000000033F8: BF8C0F7C
	s_barrier                                                  // 0000000033FC: BF8A0000
	ds_read_b128 a[0:3], v2                                    // 000000003400: DBFE0000 00000002
	ds_read_b128 a[4:7], v2 offset:64                          // 000000003408: DBFE0040 04000002
	ds_read_b128 a[8:11], v2 offset:512                        // 000000003410: DBFE0200 08000002
	ds_read_b128 a[12:15], v2 offset:576                       // 000000003418: DBFE0240 0C000002
	ds_read_b128 a[16:19], v2 offset:1024                      // 000000003420: DBFE0400 10000002
	ds_read_b128 a[20:23], v2 offset:1088                      // 000000003428: DBFE0440 14000002
	ds_read_b128 a[24:27], v2 offset:1536                      // 000000003430: DBFE0600 18000002
	ds_read_b128 a[28:31], v2 offset:1600                      // 000000003438: DBFE0640 1C000002
	ds_read_b128 a[32:35], v2 offset:2048                      // 000000003440: DBFE0800 20000002
	ds_read_b128 a[36:39], v2 offset:2112                      // 000000003448: DBFE0840 24000002
	s_cmp_lt_i32 s7, 2                                         // 000000003450: BF048207
	s_cbranch_scc0 label_0C8A                                  // 000000003454: BF8409F1

0000000000003458 <label_0296>:
	s_waitcnt vmcnt(0) lgkmcnt(0)                              // 000000003458: BF8C0070
	s_barrier                                                  // 00000000345C: BF8A0000
	v_mfma_f32_16x16x32_fp8_fp8 v[60:63], a[80:81], a[0:1], v[60:63]// 000000003460: D3F3003C 1CF20150
	v_mfma_f32_16x16x32_fp8_fp8 v[60:63], a[82:83], a[2:3], v[60:63]// 000000003468: D3F3003C 1CF20552
	buffer_load_dwordx4 a[88:91], v58, s[84:87], 0 offen       // 000000003470: E05C1000 8095583A
	v_mfma_f32_16x16x32_fp8_fp8 v[60:63], a[84:85], a[4:5], v[60:63]// 000000003478: D3F3003C 1CF20954
	v_mfma_f32_16x16x32_fp8_fp8 v[60:63], a[86:87], a[6:7], v[60:63]// 000000003480: D3F3003C 1CF20D56
	v_mfma_f32_16x16x32_fp8_fp8 v[64:67], a[80:81], a[8:9], v[64:67]// 000000003488: D3F30040 1D021150
	v_mfma_f32_16x16x32_fp8_fp8 v[64:67], a[82:83], a[10:11], v[64:67]// 000000003490: D3F30040 1D021552
	buffer_load_dwordx4 a[92:95], v58, s[84:87], 0 offen offset:1024// 000000003498: E05C1400 80955C3A
	buffer_load_dword v48, s[20:23], 0 offen lds               // 0000000034A0: E0511000 80050030
	s_add_u32 m0, 0x100, s48                                   // 0000000034A8: 807C30FF 00000100
	v_mfma_f32_16x16x32_fp8_fp8 v[64:67], a[84:85], a[12:13], v[64:67]// 0000000034B0: D3F30040 1D021954
	v_mfma_f32_16x16x32_fp8_fp8 v[64:67], a[86:87], a[14:15], v[64:67]// 0000000034B8: D3F30040 1D021D56
	buffer_load_dword v49, s[20:23], 0 offen lds               // 0000000034C0: E0511000 80050031
	s_add_u32 m0, 0x200, s48                                   // 0000000034C8: 807C30FF 00000200
	v_mfma_f32_16x16x32_fp8_fp8 v[68:71], a[80:81], a[16:17], v[68:71]// 0000000034D0: D3F30044 1D122150
	v_mfma_f32_16x16x32_fp8_fp8 v[68:71], a[82:83], a[18:19], v[68:71]// 0000000034D8: D3F30044 1D122552
	buffer_load_dword v50, s[20:23], 0 offen lds               // 0000000034E0: E0511000 80050032
	s_add_u32 m0, 0x300, s48                                   // 0000000034E8: 807C30FF 00000300
	v_mfma_f32_16x16x32_fp8_fp8 v[68:71], a[84:85], a[20:21], v[68:71]// 0000000034F0: D3F30044 1D122954
	v_mfma_f32_16x16x32_fp8_fp8 v[68:71], a[86:87], a[22:23], v[68:71]// 0000000034F8: D3F30044 1D122D56
	buffer_load_dword v51, s[20:23], 0 offen lds               // 000000003500: E0511000 80050033
	s_add_u32 m0, 0x400, s48                                   // 000000003508: 807C30FF 00000400
	v_mfma_f32_16x16x32_fp8_fp8 v[72:75], a[80:81], a[24:25], v[72:75]// 000000003510: D3F30048 1D223150
	v_mfma_f32_16x16x32_fp8_fp8 v[72:75], a[82:83], a[26:27], v[72:75]// 000000003518: D3F30048 1D223552
	buffer_load_dword v52, s[20:23], 0 offen lds               // 000000003520: E0511000 80050034
	s_add_u32 m0, 0x500, s48                                   // 000000003528: 807C30FF 00000500
	v_mfma_f32_16x16x32_fp8_fp8 v[72:75], a[84:85], a[28:29], v[72:75]// 000000003530: D3F30048 1D223954
	v_mfma_f32_16x16x32_fp8_fp8 v[72:75], a[86:87], a[30:31], v[72:75]// 000000003538: D3F30048 1D223D56
	buffer_load_dword v53, s[20:23], 0 offen lds               // 000000003540: E0511000 80050035
	s_add_u32 m0, 0x600, s48                                   // 000000003548: 807C30FF 00000600
	v_mfma_f32_16x16x32_fp8_fp8 v[76:79], a[80:81], a[32:33], v[76:79]// 000000003550: D3F3004C 1D324150
	v_mfma_f32_16x16x32_fp8_fp8 v[76:79], a[82:83], a[34:35], v[76:79]// 000000003558: D3F3004C 1D324552
	buffer_load_dword v54, s[20:23], 0 offen lds               // 000000003560: E0511000 80050036
	s_add_u32 m0, 0x700, s48                                   // 000000003568: 807C30FF 00000700
	s_add_u32 s60, 0x80, s80                                   // 000000003570: 803C50FF 00000080
	s_cmp_lt_u32 s60, s81                                      // 000000003578: BF0A513C
	s_cselect_b32 s83, s83, 0                                  // 00000000357C: 85538053
	v_mfma_f32_16x16x32_fp8_fp8 v[76:79], a[84:85], a[36:37], v[76:79]// 000000003580: D3F3004C 1D324954
	v_mfma_f32_16x16x32_fp8_fp8 v[76:79], a[86:87], a[38:39], v[76:79]// 000000003588: D3F3004C 1D324D56
	buffer_load_dword v55, s[20:23], 0 offen lds               // 000000003590: E0511000 80050037
	s_add_u32 m0, 0x800, s48                                   // 000000003598: 807C30FF 00000800
	buffer_load_dword v56, s[20:23], 0 offen lds               // 0000000035A0: E0511000 80050038
	s_add_u32 m0, 0x900, s48                                   // 0000000035A8: 807C30FF 00000900
	buffer_load_dword v57, s[20:23], 0 offen lds               // 0000000035B0: E0511000 80050039
	s_add_u32 m0, 0, s49                                       // 0000000035B8: 807C3180
	s_waitcnt vmcnt(10)                                        // 0000000035BC: BF8C0F7A
	v_mfma_f32_16x16x32_fp8_fp8 v[80:83], a[88:89], a[0:1], v[80:83]// 0000000035C0: D3F30050 1D420158
	v_mfma_f32_16x16x32_fp8_fp8 v[80:83], a[90:91], a[2:3], v[80:83]// 0000000035C8: D3F30050 1D42055A
	buffer_load_dwordx4 a[80:83], v58, s[24:27], 0 offen       // 0000000035D0: E05C1000 8086503A
	v_mfma_f32_16x16x32_fp8_fp8 v[80:83], a[92:93], a[4:5], v[80:83]// 0000000035D8: D3F30050 1D42095C
	v_mfma_f32_16x16x32_fp8_fp8 v[80:83], a[94:95], a[6:7], v[80:83]// 0000000035E0: D3F30050 1D420D5E
	ds_read_b128 a[40:43], v2 offset:10368                     // 0000000035E8: DBFE2880 28000002
	ds_read_b128 a[44:47], v2 offset:10432                     // 0000000035F0: DBFE28C0 2C000002
	v_mfma_f32_16x16x32_fp8_fp8 v[84:87], a[88:89], a[8:9], v[84:87]// 0000000035F8: D3F30054 1D521158
	v_mfma_f32_16x16x32_fp8_fp8 v[84:87], a[90:91], a[10:11], v[84:87]// 000000003600: D3F30054 1D52155A
	buffer_load_dwordx4 a[84:87], v58, s[24:27], 0 offen offset:1024// 000000003608: E05C1400 8086543A
	v_mfma_f32_16x16x32_fp8_fp8 v[84:87], a[92:93], a[12:13], v[84:87]// 000000003610: D3F30054 1D52195C
	v_mfma_f32_16x16x32_fp8_fp8 v[84:87], a[94:95], a[14:15], v[84:87]// 000000003618: D3F30054 1D521D5E
	ds_read_b128 a[48:51], v2 offset:10880                     // 000000003620: DBFE2A80 30000002
	ds_read_b128 a[52:55], v2 offset:10944                     // 000000003628: DBFE2AC0 34000002
	v_mfma_f32_16x16x32_fp8_fp8 v[88:91], a[88:89], a[16:17], v[88:91]// 000000003630: D3F30058 1D622158
	v_mfma_f32_16x16x32_fp8_fp8 v[88:91], a[90:91], a[18:19], v[88:91]// 000000003638: D3F30058 1D62255A
	v_mfma_f32_16x16x32_fp8_fp8 v[88:91], a[92:93], a[20:21], v[88:91]// 000000003640: D3F30058 1D62295C
	v_mfma_f32_16x16x32_fp8_fp8 v[88:91], a[94:95], a[22:23], v[88:91]// 000000003648: D3F30058 1D622D5E
	ds_read_b128 a[56:59], v2 offset:11392                     // 000000003650: DBFE2C80 38000002
	ds_read_b128 a[60:63], v2 offset:11456                     // 000000003658: DBFE2CC0 3C000002
	v_mfma_f32_16x16x32_fp8_fp8 v[92:95], a[88:89], a[24:25], v[92:95]// 000000003660: D3F3005C 1D723158
	v_mfma_f32_16x16x32_fp8_fp8 v[92:95], a[90:91], a[26:27], v[92:95]// 000000003668: D3F3005C 1D72355A
	v_mfma_f32_16x16x32_fp8_fp8 v[92:95], a[92:93], a[28:29], v[92:95]// 000000003670: D3F3005C 1D72395C
	s_add_u32 s60, 0x180, s80                                  // 000000003678: 803C50FF 00000180
	s_cmp_lt_u32 s60, s81                                      // 000000003680: BF0A513C
	s_cselect_b32 s57, s57, 0                                  // 000000003684: 85398039
	v_mfma_f32_16x16x32_fp8_fp8 v[92:95], a[94:95], a[30:31], v[92:95]// 000000003688: D3F3005C 1D723D5E
	ds_read_b128 a[64:67], v2 offset:11904                     // 000000003690: DBFE2E80 40000002
	ds_read_b128 a[68:71], v2 offset:11968                     // 000000003698: DBFE2EC0 44000002
	s_add_u32 s60, 0x100, s80                                  // 0000000036A0: 803C50FF 00000100
	s_cmp_lt_u32 s60, s81                                      // 0000000036A8: BF0A513C
	s_cselect_b32 s58, s58, 0                                  // 0000000036AC: 853A803A
	v_mfma_f32_16x16x32_fp8_fp8 v[96:99], a[88:89], a[32:33], v[96:99]// 0000000036B0: D3F30060 1D824158
	s_add_u32 s24, s58, s24                                    // 0000000036B8: 8018183A
	s_addc_u32 s25, 0, s25                                     // 0000000036BC: 82191980
	v_mfma_f32_16x16x32_fp8_fp8 v[96:99], a[90:91], a[34:35], v[96:99]// 0000000036C0: D3F30060 1D82455A
	s_add_u32 s20, s57, s20                                    // 0000000036C8: 80141439
	s_addc_u32 s21, 0, s21                                     // 0000000036CC: 82151580
	v_mfma_f32_16x16x32_fp8_fp8 v[96:99], a[92:93], a[36:37], v[96:99]// 0000000036D0: D3F30060 1D82495C
	s_add_u32 s84, s83, s84                                    // 0000000036D8: 80545453
	s_addc_u32 s85, 0, s85                                     // 0000000036DC: 82555580
	v_mfma_f32_16x16x32_fp8_fp8 v[96:99], a[94:95], a[38:39], v[96:99]// 0000000036E0: D3F30060 1D824D5E
	ds_read_b128 a[72:75], v2 offset:12416                     // 0000000036E8: DBFE3080 48000002
	ds_read_b128 a[76:79], v2 offset:12480                     // 0000000036F0: DBFE30C0 4C000002
	s_addk_i32 s80, 0x80                                       // 0000000036F8: B7500080
	s_cmp_lt_i32 s80, s81                                      // 0000000036FC: BF045150
	s_cbranch_scc0 label_03ED                                  // 000000003700: BF8400AC
	s_waitcnt vmcnt(0) lgkmcnt(0)                              // 000000003704: BF8C0070
	s_barrier                                                  // 000000003708: BF8A0000
	v_mfma_f32_16x16x32_fp8_fp8 v[60:63], a[80:81], a[40:41], v[60:63]// 00000000370C: D3F3003C 1CF25150
	v_mfma_f32_16x16x32_fp8_fp8 v[60:63], a[82:83], a[42:43], v[60:63]// 000000003714: D3F3003C 1CF25552
	buffer_load_dwordx4 a[88:91], v58, s[84:87], 0 offen       // 00000000371C: E05C1000 8095583A
	v_mfma_f32_16x16x32_fp8_fp8 v[60:63], a[84:85], a[44:45], v[60:63]// 000000003724: D3F3003C 1CF25954
	v_mfma_f32_16x16x32_fp8_fp8 v[60:63], a[86:87], a[46:47], v[60:63]// 00000000372C: D3F3003C 1CF25D56
	v_mfma_f32_16x16x32_fp8_fp8 v[64:67], a[80:81], a[48:49], v[64:67]// 000000003734: D3F30040 1D026150
	v_mfma_f32_16x16x32_fp8_fp8 v[64:67], a[82:83], a[50:51], v[64:67]// 00000000373C: D3F30040 1D026552
	buffer_load_dwordx4 a[92:95], v58, s[84:87], 0 offen offset:1024// 000000003744: E05C1400 80955C3A
	buffer_load_dword v48, s[20:23], 0 offen lds               // 00000000374C: E0511000 80050030
	s_add_u32 m0, 0x100, s49                                   // 000000003754: 807C31FF 00000100
	v_mfma_f32_16x16x32_fp8_fp8 v[64:67], a[84:85], a[52:53], v[64:67]// 00000000375C: D3F30040 1D026954
	v_mfma_f32_16x16x32_fp8_fp8 v[64:67], a[86:87], a[54:55], v[64:67]// 000000003764: D3F30040 1D026D56
	buffer_load_dword v49, s[20:23], 0 offen lds               // 00000000376C: E0511000 80050031
	s_add_u32 m0, 0x200, s49                                   // 000000003774: 807C31FF 00000200
	v_mfma_f32_16x16x32_fp8_fp8 v[68:71], a[80:81], a[56:57], v[68:71]// 00000000377C: D3F30044 1D127150
	v_mfma_f32_16x16x32_fp8_fp8 v[68:71], a[82:83], a[58:59], v[68:71]// 000000003784: D3F30044 1D127552
	buffer_load_dword v50, s[20:23], 0 offen lds               // 00000000378C: E0511000 80050032
	s_add_u32 m0, 0x300, s49                                   // 000000003794: 807C31FF 00000300
	v_mfma_f32_16x16x32_fp8_fp8 v[68:71], a[84:85], a[60:61], v[68:71]// 00000000379C: D3F30044 1D127954
	v_mfma_f32_16x16x32_fp8_fp8 v[68:71], a[86:87], a[62:63], v[68:71]// 0000000037A4: D3F30044 1D127D56
	buffer_load_dword v51, s[20:23], 0 offen lds               // 0000000037AC: E0511000 80050033
	s_add_u32 m0, 0x400, s49                                   // 0000000037B4: 807C31FF 00000400
	v_mfma_f32_16x16x32_fp8_fp8 v[72:75], a[80:81], a[64:65], v[72:75]// 0000000037BC: D3F30048 1D228150
	v_mfma_f32_16x16x32_fp8_fp8 v[72:75], a[82:83], a[66:67], v[72:75]// 0000000037C4: D3F30048 1D228552
	buffer_load_dword v52, s[20:23], 0 offen lds               // 0000000037CC: E0511000 80050034
	s_add_u32 m0, 0x500, s49                                   // 0000000037D4: 807C31FF 00000500
	v_mfma_f32_16x16x32_fp8_fp8 v[72:75], a[84:85], a[68:69], v[72:75]// 0000000037DC: D3F30048 1D228954
	v_mfma_f32_16x16x32_fp8_fp8 v[72:75], a[86:87], a[70:71], v[72:75]// 0000000037E4: D3F30048 1D228D56
	buffer_load_dword v53, s[20:23], 0 offen lds               // 0000000037EC: E0511000 80050035
	s_add_u32 m0, 0x600, s49                                   // 0000000037F4: 807C31FF 00000600
	v_mfma_f32_16x16x32_fp8_fp8 v[76:79], a[80:81], a[72:73], v[76:79]// 0000000037FC: D3F3004C 1D329150
	v_mfma_f32_16x16x32_fp8_fp8 v[76:79], a[82:83], a[74:75], v[76:79]// 000000003804: D3F3004C 1D329552
	buffer_load_dword v54, s[20:23], 0 offen lds               // 00000000380C: E0511000 80050036
	s_add_u32 m0, 0x700, s49                                   // 000000003814: 807C31FF 00000700
	s_add_u32 s60, 0x80, s80                                   // 00000000381C: 803C50FF 00000080
	s_cmp_lt_u32 s60, s81                                      // 000000003824: BF0A513C
	s_cselect_b32 s83, s83, 0                                  // 000000003828: 85538053
	v_mfma_f32_16x16x32_fp8_fp8 v[76:79], a[84:85], a[76:77], v[76:79]// 00000000382C: D3F3004C 1D329954
	v_mfma_f32_16x16x32_fp8_fp8 v[76:79], a[86:87], a[78:79], v[76:79]// 000000003834: D3F3004C 1D329D56
	buffer_load_dword v55, s[20:23], 0 offen lds               // 00000000383C: E0511000 80050037
	s_add_u32 m0, 0x800, s49                                   // 000000003844: 807C31FF 00000800
	buffer_load_dword v56, s[20:23], 0 offen lds               // 00000000384C: E0511000 80050038
	s_add_u32 m0, 0x900, s49                                   // 000000003854: 807C31FF 00000900
	buffer_load_dword v57, s[20:23], 0 offen lds               // 00000000385C: E0511000 80050039
	s_add_u32 m0, 0, s48                                       // 000000003864: 807C3080
	s_waitcnt vmcnt(10)                                        // 000000003868: BF8C0F7A
	v_mfma_f32_16x16x32_fp8_fp8 v[80:83], a[88:89], a[40:41], v[80:83]// 00000000386C: D3F30050 1D425158
	v_mfma_f32_16x16x32_fp8_fp8 v[80:83], a[90:91], a[42:43], v[80:83]// 000000003874: D3F30050 1D42555A
	buffer_load_dwordx4 a[80:83], v58, s[24:27], 0 offen       // 00000000387C: E05C1000 8086503A
	v_mfma_f32_16x16x32_fp8_fp8 v[80:83], a[92:93], a[44:45], v[80:83]// 000000003884: D3F30050 1D42595C
	v_mfma_f32_16x16x32_fp8_fp8 v[80:83], a[94:95], a[46:47], v[80:83]// 00000000388C: D3F30050 1D425D5E
	ds_read_b128 a[0:3], v2                                    // 000000003894: DBFE0000 00000002
	ds_read_b128 a[4:7], v2 offset:64                          // 00000000389C: DBFE0040 04000002
	v_mfma_f32_16x16x32_fp8_fp8 v[84:87], a[88:89], a[48:49], v[84:87]// 0000000038A4: D3F30054 1D526158
	v_mfma_f32_16x16x32_fp8_fp8 v[84:87], a[90:91], a[50:51], v[84:87]// 0000000038AC: D3F30054 1D52655A
	buffer_load_dwordx4 a[84:87], v58, s[24:27], 0 offen offset:1024// 0000000038B4: E05C1400 8086543A
	v_mfma_f32_16x16x32_fp8_fp8 v[84:87], a[92:93], a[52:53], v[84:87]// 0000000038BC: D3F30054 1D52695C
	v_mfma_f32_16x16x32_fp8_fp8 v[84:87], a[94:95], a[54:55], v[84:87]// 0000000038C4: D3F30054 1D526D5E
	ds_read_b128 a[8:11], v2 offset:512                        // 0000000038CC: DBFE0200 08000002
	ds_read_b128 a[12:15], v2 offset:576                       // 0000000038D4: DBFE0240 0C000002
	v_mfma_f32_16x16x32_fp8_fp8 v[88:91], a[88:89], a[56:57], v[88:91]// 0000000038DC: D3F30058 1D627158
	v_mfma_f32_16x16x32_fp8_fp8 v[88:91], a[90:91], a[58:59], v[88:91]// 0000000038E4: D3F30058 1D62755A
	v_mfma_f32_16x16x32_fp8_fp8 v[88:91], a[92:93], a[60:61], v[88:91]// 0000000038EC: D3F30058 1D62795C
	v_mfma_f32_16x16x32_fp8_fp8 v[88:91], a[94:95], a[62:63], v[88:91]// 0000000038F4: D3F30058 1D627D5E
	ds_read_b128 a[16:19], v2 offset:1024                      // 0000000038FC: DBFE0400 10000002
	ds_read_b128 a[20:23], v2 offset:1088                      // 000000003904: DBFE0440 14000002
	v_mfma_f32_16x16x32_fp8_fp8 v[92:95], a[88:89], a[64:65], v[92:95]// 00000000390C: D3F3005C 1D728158
	v_mfma_f32_16x16x32_fp8_fp8 v[92:95], a[90:91], a[66:67], v[92:95]// 000000003914: D3F3005C 1D72855A
	v_mfma_f32_16x16x32_fp8_fp8 v[92:95], a[92:93], a[68:69], v[92:95]// 00000000391C: D3F3005C 1D72895C
	s_add_u32 s60, 0x180, s80                                  // 000000003924: 803C50FF 00000180
	s_cmp_lt_u32 s60, s81                                      // 00000000392C: BF0A513C
	s_cselect_b32 s57, s57, 0                                  // 000000003930: 85398039
	v_mfma_f32_16x16x32_fp8_fp8 v[92:95], a[94:95], a[70:71], v[92:95]// 000000003934: D3F3005C 1D728D5E
	ds_read_b128 a[24:27], v2 offset:1536                      // 00000000393C: DBFE0600 18000002
	ds_read_b128 a[28:31], v2 offset:1600                      // 000000003944: DBFE0640 1C000002
	s_add_u32 s60, 0x100, s80                                  // 00000000394C: 803C50FF 00000100
	s_cmp_lt_u32 s60, s81                                      // 000000003954: BF0A513C
	s_cselect_b32 s58, s58, 0                                  // 000000003958: 853A803A
	v_mfma_f32_16x16x32_fp8_fp8 v[96:99], a[88:89], a[72:73], v[96:99]// 00000000395C: D3F30060 1D829158
	s_add_u32 s24, s58, s24                                    // 000000003964: 8018183A
	s_addc_u32 s25, 0, s25                                     // 000000003968: 82191980
	v_mfma_f32_16x16x32_fp8_fp8 v[96:99], a[90:91], a[74:75], v[96:99]// 00000000396C: D3F30060 1D82955A
	s_add_u32 s20, s57, s20                                    // 000000003974: 80141439
	s_addc_u32 s21, 0, s21                                     // 000000003978: 82151580
	v_mfma_f32_16x16x32_fp8_fp8 v[96:99], a[92:93], a[76:77], v[96:99]// 00000000397C: D3F30060 1D82995C
	s_add_u32 s84, s83, s84                                    // 000000003984: 80545453
	s_addc_u32 s85, 0, s85                                     // 000000003988: 82555580
	v_mfma_f32_16x16x32_fp8_fp8 v[96:99], a[94:95], a[78:79], v[96:99]// 00000000398C: D3F30060 1D829D5E
	ds_read_b128 a[32:35], v2 offset:2048                      // 000000003994: DBFE0800 20000002
	ds_read_b128 a[36:39], v2 offset:2112                      // 00000000399C: DBFE0840 24000002
	s_addk_i32 s80, 0x80                                       // 0000000039A4: B7500080
	s_cmp_lt_i32 s80, s81                                      // 0000000039A8: BF045150
	s_cbranch_scc0 label_03ED                                  // 0000000039AC: BF840001
	s_branch label_0296                                        // 0000000039B0: BF82FEA9

00000000000039b4 <label_03ED>:
	v_mul_f32_dpp v60, v24, v60 row_newbcast:0 row_mask:0xf bank_mask:0xf// 0000000039B4: 0A7878FA FF015018
	v_mul_f32_dpp v61, v24, v61 row_newbcast:1 row_mask:0xf bank_mask:0xf// 0000000039BC: 0A7A7AFA FF015118
	v_mul_f32_dpp v62, v24, v62 row_newbcast:2 row_mask:0xf bank_mask:0xf// 0000000039C4: 0A7C7CFA FF015218
	v_mul_f32_dpp v63, v24, v63 row_newbcast:3 row_mask:0xf bank_mask:0xf// 0000000039CC: 0A7E7EFA FF015318
	v_mul_f32_dpp v64, v24, v64 row_newbcast:0 row_mask:0xf bank_mask:0xf// 0000000039D4: 0A8080FA FF015018
	v_mul_f32_dpp v65, v24, v65 row_newbcast:1 row_mask:0xf bank_mask:0xf// 0000000039DC: 0A8282FA FF015118
	v_mul_f32_dpp v66, v24, v66 row_newbcast:2 row_mask:0xf bank_mask:0xf// 0000000039E4: 0A8484FA FF015218
	v_mul_f32_dpp v67, v24, v67 row_newbcast:3 row_mask:0xf bank_mask:0xf// 0000000039EC: 0A8686FA FF015318
	v_mul_f32_dpp v68, v24, v68 row_newbcast:0 row_mask:0xf bank_mask:0xf// 0000000039F4: 0A8888FA FF015018
	v_mul_f32_dpp v69, v24, v69 row_newbcast:1 row_mask:0xf bank_mask:0xf// 0000000039FC: 0A8A8AFA FF015118
	v_mul_f32_dpp v70, v24, v70 row_newbcast:2 row_mask:0xf bank_mask:0xf// 000000003A04: 0A8C8CFA FF015218
	v_mul_f32_dpp v71, v24, v71 row_newbcast:3 row_mask:0xf bank_mask:0xf// 000000003A0C: 0A8E8EFA FF015318
	v_mul_f32_dpp v72, v24, v72 row_newbcast:0 row_mask:0xf bank_mask:0xf// 000000003A14: 0A9090FA FF015018
	v_mul_f32_dpp v73, v24, v73 row_newbcast:1 row_mask:0xf bank_mask:0xf// 000000003A1C: 0A9292FA FF015118
	v_mul_f32_dpp v74, v24, v74 row_newbcast:2 row_mask:0xf bank_mask:0xf// 000000003A24: 0A9494FA FF015218
	v_mul_f32_dpp v75, v24, v75 row_newbcast:3 row_mask:0xf bank_mask:0xf// 000000003A2C: 0A9696FA FF015318
	v_mul_f32_dpp v76, v24, v76 row_newbcast:0 row_mask:0xf bank_mask:0xf// 000000003A34: 0A9898FA FF015018
	v_mul_f32_dpp v77, v24, v77 row_newbcast:1 row_mask:0xf bank_mask:0xf// 000000003A3C: 0A9A9AFA FF015118
	v_mul_f32_dpp v78, v24, v78 row_newbcast:2 row_mask:0xf bank_mask:0xf// 000000003A44: 0A9C9CFA FF015218
	v_mul_f32_dpp v79, v24, v79 row_newbcast:3 row_mask:0xf bank_mask:0xf// 000000003A4C: 0A9E9EFA FF015318
	v_mul_f32_dpp v80, v26, v80 row_newbcast:0 row_mask:0xf bank_mask:0xf// 000000003A54: 0AA0A0FA FF01501A
	v_mul_f32_dpp v81, v26, v81 row_newbcast:1 row_mask:0xf bank_mask:0xf// 000000003A5C: 0AA2A2FA FF01511A
	v_mul_f32_dpp v82, v26, v82 row_newbcast:2 row_mask:0xf bank_mask:0xf// 000000003A64: 0AA4A4FA FF01521A
	v_mul_f32_dpp v83, v26, v83 row_newbcast:3 row_mask:0xf bank_mask:0xf// 000000003A6C: 0AA6A6FA FF01531A
	v_mul_f32_dpp v84, v26, v84 row_newbcast:0 row_mask:0xf bank_mask:0xf// 000000003A74: 0AA8A8FA FF01501A
	v_mul_f32_dpp v85, v26, v85 row_newbcast:1 row_mask:0xf bank_mask:0xf// 000000003A7C: 0AAAAAFA FF01511A
	v_mul_f32_dpp v86, v26, v86 row_newbcast:2 row_mask:0xf bank_mask:0xf// 000000003A84: 0AACACFA FF01521A
	v_mul_f32_dpp v87, v26, v87 row_newbcast:3 row_mask:0xf bank_mask:0xf// 000000003A8C: 0AAEAEFA FF01531A
	v_mul_f32_dpp v88, v26, v88 row_newbcast:0 row_mask:0xf bank_mask:0xf// 000000003A94: 0AB0B0FA FF01501A
	v_mul_f32_dpp v89, v26, v89 row_newbcast:1 row_mask:0xf bank_mask:0xf// 000000003A9C: 0AB2B2FA FF01511A
	v_mul_f32_dpp v90, v26, v90 row_newbcast:2 row_mask:0xf bank_mask:0xf// 000000003AA4: 0AB4B4FA FF01521A
	v_mul_f32_dpp v91, v26, v91 row_newbcast:3 row_mask:0xf bank_mask:0xf// 000000003AAC: 0AB6B6FA FF01531A
	v_mul_f32_dpp v92, v26, v92 row_newbcast:0 row_mask:0xf bank_mask:0xf// 000000003AB4: 0AB8B8FA FF01501A
	v_mul_f32_dpp v93, v26, v93 row_newbcast:1 row_mask:0xf bank_mask:0xf// 000000003ABC: 0ABABAFA FF01511A
	v_mul_f32_dpp v94, v26, v94 row_newbcast:2 row_mask:0xf bank_mask:0xf// 000000003AC4: 0ABCBCFA FF01521A
	v_mul_f32_dpp v95, v26, v95 row_newbcast:3 row_mask:0xf bank_mask:0xf// 000000003ACC: 0ABEBEFA FF01531A
	v_mul_f32_dpp v96, v26, v96 row_newbcast:0 row_mask:0xf bank_mask:0xf// 000000003AD4: 0AC0C0FA FF01501A
	v_mul_f32_dpp v97, v26, v97 row_newbcast:1 row_mask:0xf bank_mask:0xf// 000000003ADC: 0AC2C2FA FF01511A
	v_mul_f32_dpp v98, v26, v98 row_newbcast:2 row_mask:0xf bank_mask:0xf// 000000003AE4: 0AC4C4FA FF01521A
	v_mul_f32_dpp v99, v26, v99 row_newbcast:3 row_mask:0xf bank_mask:0xf// 000000003AEC: 0AC6C6FA FF01531A
	v_mul_f32_e32 v33, v33, v100                               // 000000003AF4: 0A42C921
	v_mov_b32_e32 v4, v33                                      // 000000003AF8: 7E080321
	v_mov_b32_e32 v5, v4                                       // 000000003AFC: 7E0A0304
	v_pk_mul_f32 v[60:61], v[4:5], v[60:61]                    // 000000003B00: D3B1403C 18027904
	v_pk_mul_f32 v[80:81], v[4:5], v[80:81]                    // 000000003B08: D3B14050 1802A104
	v_pk_mul_f32 v[62:63], v[4:5], v[62:63]                    // 000000003B10: D3B1403E 18027D04
	v_pk_mul_f32 v[82:83], v[4:5], v[82:83]                    // 000000003B18: D3B14052 1802A504
	v_mul_f32_e32 v34, v34, v101                               // 000000003B20: 0A44CB22
	v_mov_b32_e32 v4, v34                                      // 000000003B24: 7E080322
	v_mov_b32_e32 v5, v4                                       // 000000003B28: 7E0A0304
	v_pk_mul_f32 v[64:65], v[4:5], v[64:65]                    // 000000003B2C: D3B14040 18028104
	v_pk_mul_f32 v[84:85], v[4:5], v[84:85]                    // 000000003B34: D3B14054 1802A904
	v_pk_mul_f32 v[66:67], v[4:5], v[66:67]                    // 000000003B3C: D3B14042 18028504
	v_pk_mul_f32 v[86:87], v[4:5], v[86:87]                    // 000000003B44: D3B14056 1802AD04
	v_mul_f32_e32 v35, v35, v102                               // 000000003B4C: 0A46CD23
	v_mov_b32_e32 v4, v35                                      // 000000003B50: 7E080323
	v_mov_b32_e32 v5, v4                                       // 000000003B54: 7E0A0304
	v_pk_mul_f32 v[68:69], v[4:5], v[68:69]                    // 000000003B58: D3B14044 18028904
	v_pk_mul_f32 v[88:89], v[4:5], v[88:89]                    // 000000003B60: D3B14058 1802B104
	v_pk_mul_f32 v[70:71], v[4:5], v[70:71]                    // 000000003B68: D3B14046 18028D04
	v_pk_mul_f32 v[90:91], v[4:5], v[90:91]                    // 000000003B70: D3B1405A 1802B504
	v_mul_f32_e32 v36, v36, v103                               // 000000003B78: 0A48CF24
	v_mov_b32_e32 v4, v36                                      // 000000003B7C: 7E080324
	v_mov_b32_e32 v5, v4                                       // 000000003B80: 7E0A0304
	v_pk_mul_f32 v[72:73], v[4:5], v[72:73]                    // 000000003B84: D3B14048 18029104
	v_pk_mul_f32 v[92:93], v[4:5], v[92:93]                    // 000000003B8C: D3B1405C 1802B904
	v_pk_mul_f32 v[74:75], v[4:5], v[74:75]                    // 000000003B94: D3B1404A 18029504
	v_pk_mul_f32 v[94:95], v[4:5], v[94:95]                    // 000000003B9C: D3B1405E 1802BD04
	v_mul_f32_e32 v37, v37, v104                               // 000000003BA4: 0A4AD125
	v_mov_b32_e32 v4, v37                                      // 000000003BA8: 7E080325
	v_mov_b32_e32 v5, v4                                       // 000000003BAC: 7E0A0304
	v_pk_mul_f32 v[76:77], v[4:5], v[76:77]                    // 000000003BB0: D3B1404C 18029904
	v_pk_mul_f32 v[96:97], v[4:5], v[96:97]                    // 000000003BB8: D3B14060 1802C104
	v_pk_mul_f32 v[78:79], v[4:5], v[78:79]                    // 000000003BC0: D3B1404E 18029D04
	v_pk_mul_f32 v[98:99], v[4:5], v[98:99]                    // 000000003BC8: D3B14062 1802C504
	s_cmp_eq_u32 s88, 0                                        // 000000003BD0: BF068058
	s_cbranch_scc0 label_0839                                  // 000000003BD4: BF8403C3
	s_cmp_eq_u32 s89, 0                                        // 000000003BD8: BF068059
	s_cbranch_scc1 label_0545                                  // 000000003BDC: BF8500CD
	v_mov_b32_e32 v8, v1                                       // 000000003BE0: 7E100301
	v_mov_b32_e32 v9, v1                                       // 000000003BE4: 7E120301
	s_mov_b32 s60, s6                                          // 000000003BE8: BEBC0006
	s_mov_b32 s61, s6                                          // 000000003BEC: BEBD0006
	v_pk_mul_f32 v[4:5], v[60:61], v[60:61]                    // 000000003BF0: D3B14004 1802793C
	v_pk_mul_f32 v[6:7], v[62:63], v[62:63]                    // 000000003BF8: D3B14006 18027D3E
	v_pk_fma_f32 v[4:5], v[4:5], s[78:79], v[8:9]              // 000000003C00: D3B04004 1C209D04
	v_pk_fma_f32 v[6:7], v[6:7], s[78:79], v[8:9]              // 000000003C08: D3B04006 1C209D06
	v_pk_mul_f32 v[4:5], v[4:5], v[60:61]                      // 000000003C10: D3B14004 18027904
	v_pk_mul_f32 v[6:7], v[6:7], v[62:63]                      // 000000003C18: D3B14006 18027D06
	v_pk_mul_f32 v[4:5], v[4:5], s[60:61]                      // 000000003C20: D3B14004 18007904
	v_pk_mul_f32 v[6:7], v[6:7], s[60:61]                      // 000000003C28: D3B14006 18007906
	v_exp_f32_e32 v4, v4                                       // 000000003C30: 7E084104
	v_exp_f32_e32 v5, v5                                       // 000000003C34: 7E0A4105
	v_exp_f32_e32 v6, v6                                       // 000000003C38: 7E0C4106
	v_exp_f32_e32 v7, v7                                       // 000000003C3C: 7E0E4107
	v_add_f32_e64 v4, v4, 1.0                                  // 000000003C40: D1010004 0001E504
	v_add_f32_e64 v5, v5, 1.0                                  // 000000003C48: D1010005 0001E505
	v_add_f32_e64 v6, v6, 1.0                                  // 000000003C50: D1010006 0001E506
	v_add_f32_e64 v7, v7, 1.0                                  // 000000003C58: D1010007 0001E507
	v_rcp_f32_e32 v4, v4                                       // 000000003C60: 7E084504
	v_rcp_f32_e32 v5, v5                                       // 000000003C64: 7E0A4505
	v_rcp_f32_e32 v6, v6                                       // 000000003C68: 7E0C4506
	v_rcp_f32_e32 v7, v7                                       // 000000003C6C: 7E0E4507
	v_mul_f32_e32 v60, v60, v4                                 // 000000003C70: 0A78093C
	v_mul_f32_e32 v61, v61, v5                                 // 000000003C74: 0A7A0B3D
	v_mul_f32_e32 v62, v62, v6                                 // 000000003C78: 0A7C0D3E
	v_mul_f32_e32 v63, v63, v7                                 // 000000003C7C: 0A7E0F3F
	v_mul_f32_e32 v60, v60, v80                                // 000000003C80: 0A78A13C
	v_mul_f32_e32 v61, v61, v81                                // 000000003C84: 0A7AA33D
	v_mul_f32_e32 v62, v62, v82                                // 000000003C88: 0A7CA53E
	v_mul_f32_e32 v63, v63, v83                                // 000000003C8C: 0A7EA73F
	v_pk_mul_f32 v[4:5], v[64:65], v[64:65]                    // 000000003C90: D3B14004 18028140
	v_pk_mul_f32 v[6:7], v[66:67], v[66:67]                    // 000000003C98: D3B14006 18028542
	v_pk_fma_f32 v[4:5], v[4:5], s[78:79], v[8:9]              // 000000003CA0: D3B04004 1C209D04
	v_pk_fma_f32 v[6:7], v[6:7], s[78:79], v[8:9]              // 000000003CA8: D3B04006 1C209D06
	v_pk_mul_f32 v[4:5], v[4:5], v[64:65]                      // 000000003CB0: D3B14004 18028104
	v_pk_mul_f32 v[6:7], v[6:7], v[66:67]                      // 000000003CB8: D3B14006 18028506
	v_pk_mul_f32 v[4:5], v[4:5], s[60:61]                      // 000000003CC0: D3B14004 18007904
	v_pk_mul_f32 v[6:7], v[6:7], s[60:61]                      // 000000003CC8: D3B14006 18007906
	v_exp_f32_e32 v4, v4                                       // 000000003CD0: 7E084104
	v_exp_f32_e32 v5, v5                                       // 000000003CD4: 7E0A4105
	v_exp_f32_e32 v6, v6                                       // 000000003CD8: 7E0C4106
	v_exp_f32_e32 v7, v7                                       // 000000003CDC: 7E0E4107
	v_add_f32_e64 v4, v4, 1.0                                  // 000000003CE0: D1010004 0001E504
	v_add_f32_e64 v5, v5, 1.0                                  // 000000003CE8: D1010005 0001E505
	v_add_f32_e64 v6, v6, 1.0                                  // 000000003CF0: D1010006 0001E506
	v_add_f32_e64 v7, v7, 1.0                                  // 000000003CF8: D1010007 0001E507
	v_rcp_f32_e32 v4, v4                                       // 000000003D00: 7E084504
	v_rcp_f32_e32 v5, v5                                       // 000000003D04: 7E0A4505
	v_rcp_f32_e32 v6, v6                                       // 000000003D08: 7E0C4506
	v_rcp_f32_e32 v7, v7                                       // 000000003D0C: 7E0E4507
	v_mul_f32_e32 v64, v64, v4                                 // 000000003D10: 0A800940
	v_mul_f32_e32 v65, v65, v5                                 // 000000003D14: 0A820B41
	v_mul_f32_e32 v66, v66, v6                                 // 000000003D18: 0A840D42
	v_mul_f32_e32 v67, v67, v7                                 // 000000003D1C: 0A860F43
	v_mul_f32_e32 v64, v64, v84                                // 000000003D20: 0A80A940
	v_mul_f32_e32 v65, v65, v85                                // 000000003D24: 0A82AB41
	v_mul_f32_e32 v66, v66, v86                                // 000000003D28: 0A84AD42
	v_mul_f32_e32 v67, v67, v87                                // 000000003D2C: 0A86AF43
	v_pk_mul_f32 v[4:5], v[68:69], v[68:69]                    // 000000003D30: D3B14004 18028944
	v_pk_mul_f32 v[6:7], v[70:71], v[70:71]                    // 000000003D38: D3B14006 18028D46
	v_pk_fma_f32 v[4:5], v[4:5], s[78:79], v[8:9]              // 000000003D40: D3B04004 1C209D04
	v_pk_fma_f32 v[6:7], v[6:7], s[78:79], v[8:9]              // 000000003D48: D3B04006 1C209D06
	v_pk_mul_f32 v[4:5], v[4:5], v[68:69]                      // 000000003D50: D3B14004 18028904
	v_pk_mul_f32 v[6:7], v[6:7], v[70:71]                      // 000000003D58: D3B14006 18028D06
	v_pk_mul_f32 v[4:5], v[4:5], s[60:61]                      // 000000003D60: D3B14004 18007904
	v_pk_mul_f32 v[6:7], v[6:7], s[60:61]                      // 000000003D68: D3B14006 18007906
	v_exp_f32_e32 v4, v4                                       // 000000003D70: 7E084104
	v_exp_f32_e32 v5, v5                                       // 000000003D74: 7E0A4105
	v_exp_f32_e32 v6, v6                                       // 000000003D78: 7E0C4106
	v_exp_f32_e32 v7, v7                                       // 000000003D7C: 7E0E4107
	v_add_f32_e64 v4, v4, 1.0                                  // 000000003D80: D1010004 0001E504
	v_add_f32_e64 v5, v5, 1.0                                  // 000000003D88: D1010005 0001E505
	v_add_f32_e64 v6, v6, 1.0                                  // 000000003D90: D1010006 0001E506
	v_add_f32_e64 v7, v7, 1.0                                  // 000000003D98: D1010007 0001E507
	v_rcp_f32_e32 v4, v4                                       // 000000003DA0: 7E084504
	v_rcp_f32_e32 v5, v5                                       // 000000003DA4: 7E0A4505
	v_rcp_f32_e32 v6, v6                                       // 000000003DA8: 7E0C4506
	v_rcp_f32_e32 v7, v7                                       // 000000003DAC: 7E0E4507
	v_mul_f32_e32 v68, v68, v4                                 // 000000003DB0: 0A880944
	v_mul_f32_e32 v69, v69, v5                                 // 000000003DB4: 0A8A0B45
	v_mul_f32_e32 v70, v70, v6                                 // 000000003DB8: 0A8C0D46
	v_mul_f32_e32 v71, v71, v7                                 // 000000003DBC: 0A8E0F47
	v_mul_f32_e32 v68, v68, v88                                // 000000003DC0: 0A88B144
	v_mul_f32_e32 v69, v69, v89                                // 000000003DC4: 0A8AB345
	v_mul_f32_e32 v70, v70, v90                                // 000000003DC8: 0A8CB546
	v_mul_f32_e32 v71, v71, v91                                // 000000003DCC: 0A8EB747
	v_pk_mul_f32 v[4:5], v[72:73], v[72:73]                    // 000000003DD0: D3B14004 18029148
	v_pk_mul_f32 v[6:7], v[74:75], v[74:75]                    // 000000003DD8: D3B14006 1802954A
	v_pk_fma_f32 v[4:5], v[4:5], s[78:79], v[8:9]              // 000000003DE0: D3B04004 1C209D04
	v_pk_fma_f32 v[6:7], v[6:7], s[78:79], v[8:9]              // 000000003DE8: D3B04006 1C209D06
	v_pk_mul_f32 v[4:5], v[4:5], v[72:73]                      // 000000003DF0: D3B14004 18029104
	v_pk_mul_f32 v[6:7], v[6:7], v[74:75]                      // 000000003DF8: D3B14006 18029506
	v_pk_mul_f32 v[4:5], v[4:5], s[60:61]                      // 000000003E00: D3B14004 18007904
	v_pk_mul_f32 v[6:7], v[6:7], s[60:61]                      // 000000003E08: D3B14006 18007906
	v_exp_f32_e32 v4, v4                                       // 000000003E10: 7E084104
	v_exp_f32_e32 v5, v5                                       // 000000003E14: 7E0A4105
	v_exp_f32_e32 v6, v6                                       // 000000003E18: 7E0C4106
	v_exp_f32_e32 v7, v7                                       // 000000003E1C: 7E0E4107
	v_add_f32_e64 v4, v4, 1.0                                  // 000000003E20: D1010004 0001E504
	v_add_f32_e64 v5, v5, 1.0                                  // 000000003E28: D1010005 0001E505
	v_add_f32_e64 v6, v6, 1.0                                  // 000000003E30: D1010006 0001E506
	v_add_f32_e64 v7, v7, 1.0                                  // 000000003E38: D1010007 0001E507
	v_rcp_f32_e32 v4, v4                                       // 000000003E40: 7E084504
	v_rcp_f32_e32 v5, v5                                       // 000000003E44: 7E0A4505
	v_rcp_f32_e32 v6, v6                                       // 000000003E48: 7E0C4506
	v_rcp_f32_e32 v7, v7                                       // 000000003E4C: 7E0E4507
	v_mul_f32_e32 v72, v72, v4                                 // 000000003E50: 0A900948
	v_mul_f32_e32 v73, v73, v5                                 // 000000003E54: 0A920B49
	v_mul_f32_e32 v74, v74, v6                                 // 000000003E58: 0A940D4A
	v_mul_f32_e32 v75, v75, v7                                 // 000000003E5C: 0A960F4B
	v_mul_f32_e32 v72, v72, v92                                // 000000003E60: 0A90B948
	v_mul_f32_e32 v73, v73, v93                                // 000000003E64: 0A92BB49
	v_mul_f32_e32 v74, v74, v94                                // 000000003E68: 0A94BD4A
	v_mul_f32_e32 v75, v75, v95                                // 000000003E6C: 0A96BF4B
	v_pk_mul_f32 v[4:5], v[76:77], v[76:77]                    // 000000003E70: D3B14004 1802994C
	v_pk_mul_f32 v[6:7], v[78:79], v[78:79]                    // 000000003E78: D3B14006 18029D4E
	v_pk_fma_f32 v[4:5], v[4:5], s[78:79], v[8:9]              // 000000003E80: D3B04004 1C209D04
	v_pk_fma_f32 v[6:7], v[6:7], s[78:79], v[8:9]              // 000000003E88: D3B04006 1C209D06
	v_pk_mul_f32 v[4:5], v[4:5], v[76:77]                      // 000000003E90: D3B14004 18029904
	v_pk_mul_f32 v[6:7], v[6:7], v[78:79]                      // 000000003E98: D3B14006 18029D06
	v_pk_mul_f32 v[4:5], v[4:5], s[60:61]                      // 000000003EA0: D3B14004 18007904
	v_pk_mul_f32 v[6:7], v[6:7], s[60:61]                      // 000000003EA8: D3B14006 18007906
	v_exp_f32_e32 v4, v4                                       // 000000003EB0: 7E084104
	v_exp_f32_e32 v5, v5                                       // 000000003EB4: 7E0A4105
	v_exp_f32_e32 v6, v6                                       // 000000003EB8: 7E0C4106
	v_exp_f32_e32 v7, v7                                       // 000000003EBC: 7E0E4107
	v_add_f32_e64 v4, v4, 1.0                                  // 000000003EC0: D1010004 0001E504
	v_add_f32_e64 v5, v5, 1.0                                  // 000000003EC8: D1010005 0001E505
	v_add_f32_e64 v6, v6, 1.0                                  // 000000003ED0: D1010006 0001E506
	v_add_f32_e64 v7, v7, 1.0                                  // 000000003ED8: D1010007 0001E507
	v_rcp_f32_e32 v4, v4                                       // 000000003EE0: 7E084504
	v_rcp_f32_e32 v5, v5                                       // 000000003EE4: 7E0A4505
	v_rcp_f32_e32 v6, v6                                       // 000000003EE8: 7E0C4506
	v_rcp_f32_e32 v7, v7                                       // 000000003EEC: 7E0E4507
	v_mul_f32_e32 v76, v76, v4                                 // 000000003EF0: 0A98094C
	v_mul_f32_e32 v77, v77, v5                                 // 000000003EF4: 0A9A0B4D
	v_mul_f32_e32 v78, v78, v6                                 // 000000003EF8: 0A9C0D4E
	v_mul_f32_e32 v79, v79, v7                                 // 000000003EFC: 0A9E0F4F
	v_mul_f32_e32 v76, v76, v96                                // 000000003F00: 0A98C14C
	v_mul_f32_e32 v77, v77, v97                                // 000000003F04: 0A9AC34D
	v_mul_f32_e32 v78, v78, v98                                // 000000003F08: 0A9CC54E
	v_mul_f32_e32 v79, v79, v99                                // 000000003F0C: 0A9EC74F
	s_branch label_05E5                                        // 000000003F10: BF8200A0

0000000000003f14 <label_0545>:
	v_mul_f32_e64 v4, -v60, s6                                 // 000000003F14: D1050004 20000D3C
	v_mul_f32_e64 v5, -v61, s6                                 // 000000003F1C: D1050005 20000D3D
	v_mul_f32_e64 v6, -v62, s6                                 // 000000003F24: D1050006 20000D3E
	v_mul_f32_e64 v7, -v63, s6                                 // 000000003F2C: D1050007 20000D3F
	v_exp_f32_e32 v4, v4                                       // 000000003F34: 7E084104
	v_exp_f32_e32 v5, v5                                       // 000000003F38: 7E0A4105
	v_exp_f32_e32 v6, v6                                       // 000000003F3C: 7E0C4106
	v_exp_f32_e32 v7, v7                                       // 000000003F40: 7E0E4107
	v_add_f32_e64 v4, v4, 1.0                                  // 000000003F44: D1010004 0001E504
	v_add_f32_e64 v5, v5, 1.0                                  // 000000003F4C: D1010005 0001E505
	v_add_f32_e64 v6, v6, 1.0                                  // 000000003F54: D1010006 0001E506
	v_add_f32_e64 v7, v7, 1.0                                  // 000000003F5C: D1010007 0001E507
	v_rcp_f32_e32 v4, v4                                       // 000000003F64: 7E084504
	v_rcp_f32_e32 v5, v5                                       // 000000003F68: 7E0A4505
	v_rcp_f32_e32 v6, v6                                       // 000000003F6C: 7E0C4506
	v_rcp_f32_e32 v7, v7                                       // 000000003F70: 7E0E4507
	v_mul_f32_e32 v60, v60, v4                                 // 000000003F74: 0A78093C
	v_mul_f32_e32 v61, v61, v5                                 // 000000003F78: 0A7A0B3D
	v_mul_f32_e32 v62, v62, v6                                 // 000000003F7C: 0A7C0D3E
	v_mul_f32_e32 v63, v63, v7                                 // 000000003F80: 0A7E0F3F
	v_mul_f32_e32 v60, v60, v80                                // 000000003F84: 0A78A13C
	v_mul_f32_e32 v61, v61, v81                                // 000000003F88: 0A7AA33D
	v_mul_f32_e32 v62, v62, v82                                // 000000003F8C: 0A7CA53E
	v_mul_f32_e32 v63, v63, v83                                // 000000003F90: 0A7EA73F
	v_mul_f32_e64 v4, -v64, s6                                 // 000000003F94: D1050004 20000D40
	v_mul_f32_e64 v5, -v65, s6                                 // 000000003F9C: D1050005 20000D41
	v_mul_f32_e64 v6, -v66, s6                                 // 000000003FA4: D1050006 20000D42
	v_mul_f32_e64 v7, -v67, s6                                 // 000000003FAC: D1050007 20000D43
	v_exp_f32_e32 v4, v4                                       // 000000003FB4: 7E084104
	v_exp_f32_e32 v5, v5                                       // 000000003FB8: 7E0A4105
	v_exp_f32_e32 v6, v6                                       // 000000003FBC: 7E0C4106
	v_exp_f32_e32 v7, v7                                       // 000000003FC0: 7E0E4107
	v_add_f32_e64 v4, v4, 1.0                                  // 000000003FC4: D1010004 0001E504
	v_add_f32_e64 v5, v5, 1.0                                  // 000000003FCC: D1010005 0001E505
	v_add_f32_e64 v6, v6, 1.0                                  // 000000003FD4: D1010006 0001E506
	v_add_f32_e64 v7, v7, 1.0                                  // 000000003FDC: D1010007 0001E507
	v_rcp_f32_e32 v4, v4                                       // 000000003FE4: 7E084504
	v_rcp_f32_e32 v5, v5                                       // 000000003FE8: 7E0A4505
	v_rcp_f32_e32 v6, v6                                       // 000000003FEC: 7E0C4506
	v_rcp_f32_e32 v7, v7                                       // 000000003FF0: 7E0E4507
	v_mul_f32_e32 v64, v64, v4                                 // 000000003FF4: 0A800940
	v_mul_f32_e32 v65, v65, v5                                 // 000000003FF8: 0A820B41
	v_mul_f32_e32 v66, v66, v6                                 // 000000003FFC: 0A840D42
	v_mul_f32_e32 v67, v67, v7                                 // 000000004000: 0A860F43
	v_mul_f32_e32 v64, v64, v84                                // 000000004004: 0A80A940
	v_mul_f32_e32 v65, v65, v85                                // 000000004008: 0A82AB41
	v_mul_f32_e32 v66, v66, v86                                // 00000000400C: 0A84AD42
	v_mul_f32_e32 v67, v67, v87                                // 000000004010: 0A86AF43
	v_mul_f32_e64 v4, -v68, s6                                 // 000000004014: D1050004 20000D44
	v_mul_f32_e64 v5, -v69, s6                                 // 00000000401C: D1050005 20000D45
	v_mul_f32_e64 v6, -v70, s6                                 // 000000004024: D1050006 20000D46
	v_mul_f32_e64 v7, -v71, s6                                 // 00000000402C: D1050007 20000D47
	v_exp_f32_e32 v4, v4                                       // 000000004034: 7E084104
	v_exp_f32_e32 v5, v5                                       // 000000004038: 7E0A4105
	v_exp_f32_e32 v6, v6                                       // 00000000403C: 7E0C4106
	v_exp_f32_e32 v7, v7                                       // 000000004040: 7E0E4107
	v_add_f32_e64 v4, v4, 1.0                                  // 000000004044: D1010004 0001E504
	v_add_f32_e64 v5, v5, 1.0                                  // 00000000404C: D1010005 0001E505
	v_add_f32_e64 v6, v6, 1.0                                  // 000000004054: D1010006 0001E506
	v_add_f32_e64 v7, v7, 1.0                                  // 00000000405C: D1010007 0001E507
	v_rcp_f32_e32 v4, v4                                       // 000000004064: 7E084504
	v_rcp_f32_e32 v5, v5                                       // 000000004068: 7E0A4505
	v_rcp_f32_e32 v6, v6                                       // 00000000406C: 7E0C4506
	v_rcp_f32_e32 v7, v7                                       // 000000004070: 7E0E4507
	v_mul_f32_e32 v68, v68, v4                                 // 000000004074: 0A880944
	v_mul_f32_e32 v69, v69, v5                                 // 000000004078: 0A8A0B45
	v_mul_f32_e32 v70, v70, v6                                 // 00000000407C: 0A8C0D46
	v_mul_f32_e32 v71, v71, v7                                 // 000000004080: 0A8E0F47
	v_mul_f32_e32 v68, v68, v88                                // 000000004084: 0A88B144
	v_mul_f32_e32 v69, v69, v89                                // 000000004088: 0A8AB345
	v_mul_f32_e32 v70, v70, v90                                // 00000000408C: 0A8CB546
	v_mul_f32_e32 v71, v71, v91                                // 000000004090: 0A8EB747
	v_mul_f32_e64 v4, -v72, s6                                 // 000000004094: D1050004 20000D48
	v_mul_f32_e64 v5, -v73, s6                                 // 00000000409C: D1050005 20000D49
	v_mul_f32_e64 v6, -v74, s6                                 // 0000000040A4: D1050006 20000D4A
	v_mul_f32_e64 v7, -v75, s6                                 // 0000000040AC: D1050007 20000D4B
	v_exp_f32_e32 v4, v4                                       // 0000000040B4: 7E084104
	v_exp_f32_e32 v5, v5                                       // 0000000040B8: 7E0A4105
	v_exp_f32_e32 v6, v6                                       // 0000000040BC: 7E0C4106
	v_exp_f32_e32 v7, v7                                       // 0000000040C0: 7E0E4107
	v_add_f32_e64 v4, v4, 1.0                                  // 0000000040C4: D1010004 0001E504
	v_add_f32_e64 v5, v5, 1.0                                  // 0000000040CC: D1010005 0001E505
	v_add_f32_e64 v6, v6, 1.0                                  // 0000000040D4: D1010006 0001E506
	v_add_f32_e64 v7, v7, 1.0                                  // 0000000040DC: D1010007 0001E507
	v_rcp_f32_e32 v4, v4                                       // 0000000040E4: 7E084504
	v_rcp_f32_e32 v5, v5                                       // 0000000040E8: 7E0A4505
	v_rcp_f32_e32 v6, v6                                       // 0000000040EC: 7E0C4506
	v_rcp_f32_e32 v7, v7                                       // 0000000040F0: 7E0E4507
	v_mul_f32_e32 v72, v72, v4                                 // 0000000040F4: 0A900948
	v_mul_f32_e32 v73, v73, v5                                 // 0000000040F8: 0A920B49
	v_mul_f32_e32 v74, v74, v6                                 // 0000000040FC: 0A940D4A
	v_mul_f32_e32 v75, v75, v7                                 // 000000004100: 0A960F4B
	v_mul_f32_e32 v72, v72, v92                                // 000000004104: 0A90B948
	v_mul_f32_e32 v73, v73, v93                                // 000000004108: 0A92BB49
	v_mul_f32_e32 v74, v74, v94                                // 00000000410C: 0A94BD4A
	v_mul_f32_e32 v75, v75, v95                                // 000000004110: 0A96BF4B
	v_mul_f32_e64 v4, -v76, s6                                 // 000000004114: D1050004 20000D4C
	v_mul_f32_e64 v5, -v77, s6                                 // 00000000411C: D1050005 20000D4D
	v_mul_f32_e64 v6, -v78, s6                                 // 000000004124: D1050006 20000D4E
	v_mul_f32_e64 v7, -v79, s6                                 // 00000000412C: D1050007 20000D4F
	v_exp_f32_e32 v4, v4                                       // 000000004134: 7E084104
	v_exp_f32_e32 v5, v5                                       // 000000004138: 7E0A4105
	v_exp_f32_e32 v6, v6                                       // 00000000413C: 7E0C4106
	v_exp_f32_e32 v7, v7                                       // 000000004140: 7E0E4107
	v_add_f32_e64 v4, v4, 1.0                                  // 000000004144: D1010004 0001E504
	v_add_f32_e64 v5, v5, 1.0                                  // 00000000414C: D1010005 0001E505
	v_add_f32_e64 v6, v6, 1.0                                  // 000000004154: D1010006 0001E506
	v_add_f32_e64 v7, v7, 1.0                                  // 00000000415C: D1010007 0001E507
	v_rcp_f32_e32 v4, v4                                       // 000000004164: 7E084504
	v_rcp_f32_e32 v5, v5                                       // 000000004168: 7E0A4505
	v_rcp_f32_e32 v6, v6                                       // 00000000416C: 7E0C4506
	v_rcp_f32_e32 v7, v7                                       // 000000004170: 7E0E4507
	v_mul_f32_e32 v76, v76, v4                                 // 000000004174: 0A98094C
	v_mul_f32_e32 v77, v77, v5                                 // 000000004178: 0A9A0B4D
	v_mul_f32_e32 v78, v78, v6                                 // 00000000417C: 0A9C0D4E
	v_mul_f32_e32 v79, v79, v7                                 // 000000004180: 0A9E0F4F
	v_mul_f32_e32 v76, v76, v96                                // 000000004184: 0A98C14C
	v_mul_f32_e32 v77, v77, v97                                // 000000004188: 0A9AC34D
	v_mul_f32_e32 v78, v78, v98                                // 00000000418C: 0A9CC54E
	v_mul_f32_e32 v79, v79, v99                                // 000000004190: 0A9EC74F

0000000000004194 <label_05E5>:
	v_cmp_u_f32_e64 s[46:47], v60, v60                         // 000000004194: D048002E 0002793C
	v_add3_u32 v16, v60, v19, 1                                // 00000000419C: D1FF0010 0206273C
	v_cndmask_b32_e64 v4, v16, v18, s[46:47]                   // 0000000041A4: D1000004 00BA2510
	v_cmp_u_f32_e64 s[46:47], v61, v61                         // 0000000041AC: D048002E 00027B3D
	v_add3_u32 v16, v61, v19, 1                                // 0000000041B4: D1FF0010 0206273D
	v_cndmask_b32_e64 v5, v16, v18, s[46:47]                   // 0000000041BC: D1000005 00BA2510
	v_perm_b32 v60, v5, v4, s52                                // 0000000041C4: D1ED003C 00D20905
	v_cmp_u_f32_e64 s[46:47], v62, v62                         // 0000000041CC: D048002E 00027D3E
	v_add3_u32 v16, v62, v19, 1                                // 0000000041D4: D1FF0010 0206273E
	v_cndmask_b32_e64 v4, v16, v18, s[46:47]                   // 0000000041DC: D1000004 00BA2510
	v_cmp_u_f32_e64 s[46:47], v63, v63                         // 0000000041E4: D048002E 00027F3F
	v_add3_u32 v16, v63, v19, 1                                // 0000000041EC: D1FF0010 0206273F
	v_cndmask_b32_e64 v5, v16, v18, s[46:47]                   // 0000000041F4: D1000005 00BA2510
	v_perm_b32 v61, v5, v4, s52                                // 0000000041FC: D1ED003D 00D20905
	v_cmp_u_f32_e64 s[46:47], v64, v64                         // 000000004204: D048002E 00028140
	v_add3_u32 v16, v64, v19, 1                                // 00000000420C: D1FF0010 02062740
	v_cndmask_b32_e64 v4, v16, v18, s[46:47]                   // 000000004214: D1000004 00BA2510
	v_cmp_u_f32_e64 s[46:47], v65, v65                         // 00000000421C: D048002E 00028341
	v_add3_u32 v16, v65, v19, 1                                // 000000004224: D1FF0010 02062741
	v_cndmask_b32_e64 v5, v16, v18, s[46:47]                   // 00000000422C: D1000005 00BA2510
	v_perm_b32 v62, v5, v4, s52                                // 000000004234: D1ED003E 00D20905
	v_cmp_u_f32_e64 s[46:47], v66, v66                         // 00000000423C: D048002E 00028542
	v_add3_u32 v16, v66, v19, 1                                // 000000004244: D1FF0010 02062742
	v_cndmask_b32_e64 v4, v16, v18, s[46:47]                   // 00000000424C: D1000004 00BA2510
	v_cmp_u_f32_e64 s[46:47], v67, v67                         // 000000004254: D048002E 00028743
	v_add3_u32 v16, v67, v19, 1                                // 00000000425C: D1FF0010 02062743
	v_cndmask_b32_e64 v5, v16, v18, s[46:47]                   // 000000004264: D1000005 00BA2510
	v_perm_b32 v63, v5, v4, s52                                // 00000000426C: D1ED003F 00D20905
	v_cmp_u_f32_e64 s[46:47], v68, v68                         // 000000004274: D048002E 00028944
	v_add3_u32 v16, v68, v19, 1                                // 00000000427C: D1FF0010 02062744
	v_cndmask_b32_e64 v4, v16, v18, s[46:47]                   // 000000004284: D1000004 00BA2510
	v_cmp_u_f32_e64 s[46:47], v69, v69                         // 00000000428C: D048002E 00028B45
	v_add3_u32 v16, v69, v19, 1                                // 000000004294: D1FF0010 02062745
	v_cndmask_b32_e64 v5, v16, v18, s[46:47]                   // 00000000429C: D1000005 00BA2510
	v_perm_b32 v64, v5, v4, s52                                // 0000000042A4: D1ED0040 00D20905
	v_cmp_u_f32_e64 s[46:47], v70, v70                         // 0000000042AC: D048002E 00028D46
	v_add3_u32 v16, v70, v19, 1                                // 0000000042B4: D1FF0010 02062746
	v_cndmask_b32_e64 v4, v16, v18, s[46:47]                   // 0000000042BC: D1000004 00BA2510
	v_cmp_u_f32_e64 s[46:47], v71, v71                         // 0000000042C4: D048002E 00028F47
	v_add3_u32 v16, v71, v19, 1                                // 0000000042CC: D1FF0010 02062747
	v_cndmask_b32_e64 v5, v16, v18, s[46:47]                   // 0000000042D4: D1000005 00BA2510
	v_perm_b32 v65, v5, v4, s52                                // 0000000042DC: D1ED0041 00D20905
	v_cmp_u_f32_e64 s[46:47], v72, v72                         // 0000000042E4: D048002E 00029148
	v_add3_u32 v16, v72, v19, 1                                // 0000000042EC: D1FF0010 02062748
	v_cndmask_b32_e64 v4, v16, v18, s[46:47]                   // 0000000042F4: D1000004 00BA2510
	v_cmp_u_f32_e64 s[46:47], v73, v73                         // 0000000042FC: D048002E 00029349
	v_add3_u32 v16, v73, v19, 1                                // 000000004304: D1FF0010 02062749
	v_cndmask_b32_e64 v5, v16, v18, s[46:47]                   // 00000000430C: D1000005 00BA2510
	v_perm_b32 v66, v5, v4, s52                                // 000000004314: D1ED0042 00D20905
	v_cmp_u_f32_e64 s[46:47], v74, v74                         // 00000000431C: D048002E 0002954A
	v_add3_u32 v16, v74, v19, 1                                // 000000004324: D1FF0010 0206274A
	v_cndmask_b32_e64 v4, v16, v18, s[46:47]                   // 00000000432C: D1000004 00BA2510
	v_cmp_u_f32_e64 s[46:47], v75, v75                         // 000000004334: D048002E 0002974B
	v_add3_u32 v16, v75, v19, 1                                // 00000000433C: D1FF0010 0206274B
	v_cndmask_b32_e64 v5, v16, v18, s[46:47]                   // 000000004344: D1000005 00BA2510
	v_perm_b32 v67, v5, v4, s52                                // 00000000434C: D1ED0043 00D20905
	v_cmp_u_f32_e64 s[46:47], v76, v76                         // 000000004354: D048002E 0002994C
	v_add3_u32 v16, v76, v19, 1                                // 00000000435C: D1FF0010 0206274C
	v_cndmask_b32_e64 v4, v16, v18, s[46:47]                   // 000000004364: D1000004 00BA2510
	v_cmp_u_f32_e64 s[46:47], v77, v77                         // 00000000436C: D048002E 00029B4D
	v_add3_u32 v16, v77, v19, 1                                // 000000004374: D1FF0010 0206274D
	v_cndmask_b32_e64 v5, v16, v18, s[46:47]                   // 00000000437C: D1000005 00BA2510
	v_perm_b32 v68, v5, v4, s52                                // 000000004384: D1ED0044 00D20905
	v_cmp_u_f32_e64 s[46:47], v78, v78                         // 00000000438C: D048002E 00029D4E
	v_add3_u32 v16, v78, v19, 1                                // 000000004394: D1FF0010 0206274E
	v_cndmask_b32_e64 v4, v16, v18, s[46:47]                   // 00000000439C: D1000004 00BA2510
	v_cmp_u_f32_e64 s[46:47], v79, v79                         // 0000000043A4: D048002E 00029F4F
	v_add3_u32 v16, v79, v19, 1                                // 0000000043AC: D1FF0010 0206274F
	v_cndmask_b32_e64 v5, v16, v18, s[46:47]                   // 0000000043B4: D1000005 00BA2510
	v_perm_b32 v69, v5, v4, s52                                // 0000000043BC: D1ED0045 00D20905
	ds_write_b64 v20, v[60:61]                                 // 0000000043C4: D89A0000 00003C14
	ds_write_b64 v20, v[62:63] offset:2176                     // 0000000043CC: D89A0880 00003E14
	ds_write_b64 v20, v[64:65] offset:4352                     // 0000000043D4: D89A1100 00004014
	ds_write_b64 v20, v[66:67] offset:6528                     // 0000000043DC: D89A1980 00004214
	ds_write_b64 v20, v[68:69] offset:8704                     // 0000000043E4: D89A2200 00004414
	v_lshrrev_b32_e32 v4, 5, v0                                // 0000000043EC: 20080085
	v_xor_b32_e32 v5, 1, v4                                    // 0000000043F0: 2A0A0881
	s_mul_i32 s60, s65, 2                                      // 0000000043F4: 923C8241
	s_cmp_eq_u32 s88, 0                                        // 0000000043F8: BF068058
	s_cselect_b32 s61, 1, 4                                    // 0000000043FC: 853D8481
	s_mul_i32 s60, s61, s60                                    // 000000004400: 923C3C3D
	v_readlane_b32 s82, v3, 0                                  // 000000004404: D2890052 00010103
	s_lshr_b32 s61, s82, 24                                    // 00000000440C: 8F3D9852
	s_and_b32 s82, s82, 0xffffff                               // 000000004410: 8652FF52 00FFFFFF
	s_mul_i32 s82, s82, s71                                    // 000000004418: 92524752
	s_mul_i32 s61, s60, s61                                    // 00000000441C: 923D3D3C
	s_add_u32 s82, s82, s61                                    // 000000004420: 80523D52
	v_mul_lo_u32 v6, v5, s82                                   // 000000004424: D2850006 0000A505
	v_readlane_b32 s82, v3, 1                                  // 00000000442C: D2890052 00010303
	s_lshr_b32 s61, s82, 24                                    // 000000004434: 8F3D9852
	s_and_b32 s82, s82, 0xffffff                               // 000000004438: 8652FF52 00FFFFFF
	s_mul_i32 s82, s82, s71                                    // 000000004440: 92524752
	s_mul_i32 s61, s60, s61                                    // 000000004444: 923D3D3C
	s_add_u32 s82, s82, s61                                    // 000000004448: 80523D52
	v_mul_lo_u32 v7, v4, s82                                   // 00000000444C: D2850007 0000A504
	v_add_u32_e32 v48, v6, v7                                  // 000000004454: 68600F06
	v_readlane_b32 s82, v3, 2                                  // 000000004458: D2890052 00010503
	s_lshr_b32 s61, s82, 24                                    // 000000004460: 8F3D9852
	s_and_b32 s82, s82, 0xffffff                               // 000000004464: 8652FF52 00FFFFFF
	s_mul_i32 s82, s82, s71                                    // 00000000446C: 92524752
	s_mul_i32 s61, s60, s61                                    // 000000004470: 923D3D3C
	s_add_u32 s82, s82, s61                                    // 000000004474: 80523D52
	v_mul_lo_u32 v6, v5, s82                                   // 000000004478: D2850006 0000A505
	v_readlane_b32 s82, v3, 3                                  // 000000004480: D2890052 00010703
	s_lshr_b32 s61, s82, 24                                    // 000000004488: 8F3D9852
	s_and_b32 s82, s82, 0xffffff                               // 00000000448C: 8652FF52 00FFFFFF
	s_mul_i32 s82, s82, s71                                    // 000000004494: 92524752
	s_mul_i32 s61, s60, s61                                    // 000000004498: 923D3D3C
	s_add_u32 s82, s82, s61                                    // 00000000449C: 80523D52
	v_mul_lo_u32 v7, v4, s82                                   // 0000000044A0: D2850007 0000A504
	v_add_u32_e32 v49, v6, v7                                  // 0000000044A8: 68620F06
	v_readlane_b32 s82, v3, 4                                  // 0000000044AC: D2890052 00010903
	s_lshr_b32 s61, s82, 24                                    // 0000000044B4: 8F3D9852
	s_and_b32 s82, s82, 0xffffff                               // 0000000044B8: 8652FF52 00FFFFFF
	s_mul_i32 s82, s82, s71                                    // 0000000044C0: 92524752
	s_mul_i32 s61, s60, s61                                    // 0000000044C4: 923D3D3C
	s_add_u32 s82, s82, s61                                    // 0000000044C8: 80523D52
	v_mul_lo_u32 v6, v5, s82                                   // 0000000044CC: D2850006 0000A505
	v_readlane_b32 s82, v3, 5                                  // 0000000044D4: D2890052 00010B03
	s_lshr_b32 s61, s82, 24                                    // 0000000044DC: 8F3D9852
	s_and_b32 s82, s82, 0xffffff                               // 0000000044E0: 8652FF52 00FFFFFF
	s_mul_i32 s82, s82, s71                                    // 0000000044E8: 92524752
	s_mul_i32 s61, s60, s61                                    // 0000000044EC: 923D3D3C
	s_add_u32 s82, s82, s61                                    // 0000000044F0: 80523D52
	v_mul_lo_u32 v7, v4, s82                                   // 0000000044F4: D2850007 0000A504
	v_add_u32_e32 v50, v6, v7                                  // 0000000044FC: 68640F06
	v_readlane_b32 s82, v3, 6                                  // 000000004500: D2890052 00010D03
	s_lshr_b32 s61, s82, 24                                    // 000000004508: 8F3D9852
	s_and_b32 s82, s82, 0xffffff                               // 00000000450C: 8652FF52 00FFFFFF
	s_mul_i32 s82, s82, s71                                    // 000000004514: 92524752
	s_mul_i32 s61, s60, s61                                    // 000000004518: 923D3D3C
	s_add_u32 s82, s82, s61                                    // 00000000451C: 80523D52
	v_mul_lo_u32 v6, v5, s82                                   // 000000004520: D2850006 0000A505
	v_readlane_b32 s82, v3, 7                                  // 000000004528: D2890052 00010F03
	s_lshr_b32 s61, s82, 24                                    // 000000004530: 8F3D9852
	s_and_b32 s82, s82, 0xffffff                               // 000000004534: 8652FF52 00FFFFFF
	s_mul_i32 s82, s82, s71                                    // 00000000453C: 92524752
	s_mul_i32 s61, s60, s61                                    // 000000004540: 923D3D3C
	s_add_u32 s82, s82, s61                                    // 000000004544: 80523D52
	v_mul_lo_u32 v7, v4, s82                                   // 000000004548: D2850007 0000A504
	v_add_u32_e32 v51, v6, v7                                  // 000000004550: 68660F06
	v_readlane_b32 s82, v3, 8                                  // 000000004554: D2890052 00011103
	s_lshr_b32 s61, s82, 24                                    // 00000000455C: 8F3D9852
	s_and_b32 s82, s82, 0xffffff                               // 000000004560: 8652FF52 00FFFFFF
	s_mul_i32 s82, s82, s71                                    // 000000004568: 92524752
	s_mul_i32 s61, s60, s61                                    // 00000000456C: 923D3D3C
	s_add_u32 s82, s82, s61                                    // 000000004570: 80523D52
	v_mul_lo_u32 v6, v5, s82                                   // 000000004574: D2850006 0000A505
	v_readlane_b32 s82, v3, 9                                  // 00000000457C: D2890052 00011303
	s_lshr_b32 s61, s82, 24                                    // 000000004584: 8F3D9852
	s_and_b32 s82, s82, 0xffffff                               // 000000004588: 8652FF52 00FFFFFF
	s_mul_i32 s82, s82, s71                                    // 000000004590: 92524752
	s_mul_i32 s61, s60, s61                                    // 000000004594: 923D3D3C
	s_add_u32 s82, s82, s61                                    // 000000004598: 80523D52
	v_mul_lo_u32 v7, v4, s82                                   // 00000000459C: D2850007 0000A504
	v_add_u32_e32 v52, v6, v7                                  // 0000000045A4: 68680F06
	v_readlane_b32 s82, v3, 10                                 // 0000000045A8: D2890052 00011503
	s_lshr_b32 s61, s82, 24                                    // 0000000045B0: 8F3D9852
	s_and_b32 s82, s82, 0xffffff                               // 0000000045B4: 8652FF52 00FFFFFF
	s_mul_i32 s82, s82, s71                                    // 0000000045BC: 92524752
	s_mul_i32 s61, s60, s61                                    // 0000000045C0: 923D3D3C
	s_add_u32 s82, s82, s61                                    // 0000000045C4: 80523D52
	v_mul_lo_u32 v6, v5, s82                                   // 0000000045C8: D2850006 0000A505
	v_readlane_b32 s82, v3, 11                                 // 0000000045D0: D2890052 00011703
	s_lshr_b32 s61, s82, 24                                    // 0000000045D8: 8F3D9852
	s_and_b32 s82, s82, 0xffffff                               // 0000000045DC: 8652FF52 00FFFFFF
	s_mul_i32 s82, s82, s71                                    // 0000000045E4: 92524752
	s_mul_i32 s61, s60, s61                                    // 0000000045E8: 923D3D3C
	s_add_u32 s82, s82, s61                                    // 0000000045EC: 80523D52
	v_mul_lo_u32 v7, v4, s82                                   // 0000000045F0: D2850007 0000A504
	v_add_u32_e32 v53, v6, v7                                  // 0000000045F8: 686A0F06
	v_readlane_b32 s82, v3, 12                                 // 0000000045FC: D2890052 00011903
	s_lshr_b32 s61, s82, 24                                    // 000000004604: 8F3D9852
	s_and_b32 s82, s82, 0xffffff                               // 000000004608: 8652FF52 00FFFFFF
	s_mul_i32 s82, s82, s71                                    // 000000004610: 92524752
	s_mul_i32 s61, s60, s61                                    // 000000004614: 923D3D3C
	s_add_u32 s82, s82, s61                                    // 000000004618: 80523D52
	v_mul_lo_u32 v6, v5, s82                                   // 00000000461C: D2850006 0000A505
	v_readlane_b32 s82, v3, 13                                 // 000000004624: D2890052 00011B03
	s_lshr_b32 s61, s82, 24                                    // 00000000462C: 8F3D9852
	s_and_b32 s82, s82, 0xffffff                               // 000000004630: 8652FF52 00FFFFFF
	s_mul_i32 s82, s82, s71                                    // 000000004638: 92524752
	s_mul_i32 s61, s60, s61                                    // 00000000463C: 923D3D3C
	s_add_u32 s82, s82, s61                                    // 000000004640: 80523D52
	v_mul_lo_u32 v7, v4, s82                                   // 000000004644: D2850007 0000A504
	v_add_u32_e32 v54, v6, v7                                  // 00000000464C: 686C0F06
	v_readlane_b32 s82, v3, 14                                 // 000000004650: D2890052 00011D03
	s_lshr_b32 s61, s82, 24                                    // 000000004658: 8F3D9852
	s_and_b32 s82, s82, 0xffffff                               // 00000000465C: 8652FF52 00FFFFFF
	s_mul_i32 s82, s82, s71                                    // 000000004664: 92524752
	s_mul_i32 s61, s60, s61                                    // 000000004668: 923D3D3C
	s_add_u32 s82, s82, s61                                    // 00000000466C: 80523D52
	v_mul_lo_u32 v6, v5, s82                                   // 000000004670: D2850006 0000A505
	v_readlane_b32 s82, v3, 15                                 // 000000004678: D2890052 00011F03
	s_lshr_b32 s61, s82, 24                                    // 000000004680: 8F3D9852
	s_and_b32 s82, s82, 0xffffff                               // 000000004684: 8652FF52 00FFFFFF
	s_mul_i32 s82, s82, s71                                    // 00000000468C: 92524752
	s_mul_i32 s61, s60, s61                                    // 000000004690: 923D3D3C
	s_add_u32 s82, s82, s61                                    // 000000004694: 80523D52
	v_mul_lo_u32 v7, v4, s82                                   // 000000004698: D2850007 0000A504
	v_add_u32_e32 v55, v6, v7                                  // 0000000046A0: 686E0F06
	v_readlane_b32 s82, v3, 16                                 // 0000000046A4: D2890052 00012103
	s_lshr_b32 s61, s82, 24                                    // 0000000046AC: 8F3D9852
	s_and_b32 s82, s82, 0xffffff                               // 0000000046B0: 8652FF52 00FFFFFF
	s_mul_i32 s82, s82, s71                                    // 0000000046B8: 92524752
	s_mul_i32 s61, s60, s61                                    // 0000000046BC: 923D3D3C
	s_add_u32 s82, s82, s61                                    // 0000000046C0: 80523D52
	v_mul_lo_u32 v6, v5, s82                                   // 0000000046C4: D2850006 0000A505
	v_readlane_b32 s82, v3, 17                                 // 0000000046CC: D2890052 00012303
	s_lshr_b32 s61, s82, 24                                    // 0000000046D4: 8F3D9852
	s_and_b32 s82, s82, 0xffffff                               // 0000000046D8: 8652FF52 00FFFFFF
	s_mul_i32 s82, s82, s71                                    // 0000000046E0: 92524752
	s_mul_i32 s61, s60, s61                                    // 0000000046E4: 923D3D3C
	s_add_u32 s82, s82, s61                                    // 0000000046E8: 80523D52
	v_mul_lo_u32 v7, v4, s82                                   // 0000000046EC: D2850007 0000A504
	v_add_u32_e32 v56, v6, v7                                  // 0000000046F4: 68700F06
	v_readlane_b32 s82, v3, 18                                 // 0000000046F8: D2890052 00012503
	s_lshr_b32 s61, s82, 24                                    // 000000004700: 8F3D9852
	s_and_b32 s82, s82, 0xffffff                               // 000000004704: 8652FF52 00FFFFFF
	s_mul_i32 s82, s82, s71                                    // 00000000470C: 92524752
	s_mul_i32 s61, s60, s61                                    // 000000004710: 923D3D3C
	s_add_u32 s82, s82, s61                                    // 000000004714: 80523D52
	v_mul_lo_u32 v6, v5, s82                                   // 000000004718: D2850006 0000A505
	v_readlane_b32 s82, v3, 19                                 // 000000004720: D2890052 00012703
	s_lshr_b32 s61, s82, 24                                    // 000000004728: 8F3D9852
	s_and_b32 s82, s82, 0xffffff                               // 00000000472C: 8652FF52 00FFFFFF
	s_mul_i32 s82, s82, s71                                    // 000000004734: 92524752
	s_mul_i32 s61, s60, s61                                    // 000000004738: 923D3D3C
	s_add_u32 s82, s82, s61                                    // 00000000473C: 80523D52
	v_mul_lo_u32 v7, v4, s82                                   // 000000004740: D2850007 0000A504
	v_add_u32_e32 v57, v6, v7                                  // 000000004748: 68720F06
	v_and_b32_e32 v4, 31, v0                                   // 00000000474C: 2608009F
	v_lshrrev_b32_e32 v4, 1, v4                                // 000000004750: 20080881
	s_cmp_eq_u32 s88, 0                                        // 000000004754: BF068058
	s_cselect_b32 s61, 2, 4                                    // 000000004758: 853D8482
	v_mul_lo_u32 v4, v4, s61                                   // 00000000475C: D2850004 00007B04
	v_and_b32_e64 v5, v0, 1                                    // 000000004764: D1130005 00010300
	v_add_u32_e32 v4, v4, v5                                   // 00000000476C: 68080B04
	v_lshlrev_b32_e32 v4, 2, v4                                // 000000004770: 24080882
	v_add_u32_e32 v48, v48, v4                                 // 000000004774: 68600930
	v_add_u32_e32 v49, v49, v4                                 // 000000004778: 68620931
	v_add_u32_e32 v50, v50, v4                                 // 00000000477C: 68640932
	v_add_u32_e32 v51, v51, v4                                 // 000000004780: 68660933
	v_add_u32_e32 v52, v52, v4                                 // 000000004784: 68680934
	v_add_u32_e32 v53, v53, v4                                 // 000000004788: 686A0935
	v_add_u32_e32 v54, v54, v4                                 // 00000000478C: 686C0936
	v_add_u32_e32 v55, v55, v4                                 // 000000004790: 686E0937
	v_add_u32_e32 v56, v56, v4                                 // 000000004794: 68700938
	v_add_u32_e32 v57, v57, v4                                 // 000000004798: 68720939
	s_waitcnt lgkmcnt(0)                                       // 00000000479C: BF8CC07F
	s_barrier                                                  // 0000000047A0: BF8A0000
	ds_read_b32 v60, v21                                       // 0000000047A4: D86C0000 3C000015
	ds_read_b32 v61, v21 offset:64                             // 0000000047AC: D86C0040 3D000015
	ds_read_b32 v62, v21 offset:2176                           // 0000000047B4: D86C0880 3E000015
	ds_read_b32 v63, v21 offset:2240                           // 0000000047BC: D86C08C0 3F000015
	ds_read_b32 v64, v21 offset:4352                           // 0000000047C4: D86C1100 40000015
	ds_read_b32 v65, v21 offset:4416                           // 0000000047CC: D86C1140 41000015
	ds_read_b32 v66, v21 offset:6528                           // 0000000047D4: D86C1980 42000015
	ds_read_b32 v67, v21 offset:6592                           // 0000000047DC: D86C19C0 43000015
	ds_read_b32 v68, v21 offset:8704                           // 0000000047E4: D86C2200 44000015
	ds_read_b32 v69, v21 offset:8768                           // 0000000047EC: D86C2240 45000015
	s_waitcnt lgkmcnt(0)                                       // 0000000047F4: BF8CC07F
	s_mov_b32 s36, -1                                          // 0000000047F8: BEA400C1
	s_mov_b32 s37, -1                                          // 0000000047FC: BEA500C1
	v_mov_b32_e32 v7, 0                                        // 000000004800: 7E0E0280
	s_or_b32 s9, s9, 0x40000                                   // 000000004804: 8709FF09 00040000
	s_mov_b64 exec, s[36:37]                                   // 00000000480C: BEFE0124
	v_mov_b32_e32 v6, v48                                      // 000000004810: 7E0C0330
	s_mov_b64 s[60:61], 0                                      // 000000004814: BEBC0180
	v_readlane_b32 s82, v3, 0                                  // 000000004818: D2890052 00010103
	s_and_b32 s82, s82, 0xffffff                               // 000000004820: 8652FF52 00FFFFFF
	s_cmp_lt_u32 s82, s66                                      // 000000004828: BF0A4252
	s_cselect_b32 s20, s36, s60                                // 00000000482C: 85143C24
	v_readlane_b32 s82, v3, 1                                  // 000000004830: D2890052 00010303
	s_and_b32 s82, s82, 0xffffff                               // 000000004838: 8652FF52 00FFFFFF
	s_cmp_lt_u32 s82, s66                                      // 000000004840: BF0A4252
	s_cselect_b32 s21, s36, s60                                // 000000004844: 85153C24
	s_mov_b64 exec, s[20:21]                                   // 000000004848: BEFE0114
	buffer_store_dword v60, v6, s[8:11], 0 offen               // 00000000484C: E0701000 80023C06
	s_mov_b64 exec, s[36:37]                                   // 000000004854: BEFE0124
	v_mov_b32_e32 v6, v49                                      // 000000004858: 7E0C0331
	s_mov_b64 s[60:61], 0                                      // 00000000485C: BEBC0180
	v_readlane_b32 s82, v3, 2                                  // 000000004860: D2890052 00010503
	s_and_b32 s82, s82, 0xffffff                               // 000000004868: 8652FF52 00FFFFFF
	s_cmp_lt_u32 s82, s66                                      // 000000004870: BF0A4252
	s_cselect_b32 s20, s36, s60                                // 000000004874: 85143C24
	v_readlane_b32 s82, v3, 3                                  // 000000004878: D2890052 00010703
	s_and_b32 s82, s82, 0xffffff                               // 000000004880: 8652FF52 00FFFFFF
	s_cmp_lt_u32 s82, s66                                      // 000000004888: BF0A4252
	s_cselect_b32 s21, s36, s60                                // 00000000488C: 85153C24
	s_mov_b64 exec, s[20:21]                                   // 000000004890: BEFE0114
	buffer_store_dword v61, v6, s[8:11], 0 offen               // 000000004894: E0701000 80023D06
	s_mov_b64 exec, s[36:37]                                   // 00000000489C: BEFE0124
	v_mov_b32_e32 v6, v50                                      // 0000000048A0: 7E0C0332
	s_mov_b64 s[60:61], 0                                      // 0000000048A4: BEBC0180
	v_readlane_b32 s82, v3, 4                                  // 0000000048A8: D2890052 00010903
	s_and_b32 s82, s82, 0xffffff                               // 0000000048B0: 8652FF52 00FFFFFF
	s_cmp_lt_u32 s82, s66                                      // 0000000048B8: BF0A4252
	s_cselect_b32 s20, s36, s60                                // 0000000048BC: 85143C24
	v_readlane_b32 s82, v3, 5                                  // 0000000048C0: D2890052 00010B03
	s_and_b32 s82, s82, 0xffffff                               // 0000000048C8: 8652FF52 00FFFFFF
	s_cmp_lt_u32 s82, s66                                      // 0000000048D0: BF0A4252
	s_cselect_b32 s21, s36, s60                                // 0000000048D4: 85153C24
	s_mov_b64 exec, s[20:21]                                   // 0000000048D8: BEFE0114
	buffer_store_dword v62, v6, s[8:11], 0 offen               // 0000000048DC: E0701000 80023E06
	s_mov_b64 exec, s[36:37]                                   // 0000000048E4: BEFE0124
	v_mov_b32_e32 v6, v51                                      // 0000000048E8: 7E0C0333
	s_mov_b64 s[60:61], 0                                      // 0000000048EC: BEBC0180
	v_readlane_b32 s82, v3, 6                                  // 0000000048F0: D2890052 00010D03
	s_and_b32 s82, s82, 0xffffff                               // 0000000048F8: 8652FF52 00FFFFFF
	s_cmp_lt_u32 s82, s66                                      // 000000004900: BF0A4252
	s_cselect_b32 s20, s36, s60                                // 000000004904: 85143C24
	v_readlane_b32 s82, v3, 7                                  // 000000004908: D2890052 00010F03
	s_and_b32 s82, s82, 0xffffff                               // 000000004910: 8652FF52 00FFFFFF
	s_cmp_lt_u32 s82, s66                                      // 000000004918: BF0A4252
	s_cselect_b32 s21, s36, s60                                // 00000000491C: 85153C24
	s_mov_b64 exec, s[20:21]                                   // 000000004920: BEFE0114
	buffer_store_dword v63, v6, s[8:11], 0 offen               // 000000004924: E0701000 80023F06
	s_mov_b64 exec, s[36:37]                                   // 00000000492C: BEFE0124
	v_mov_b32_e32 v6, v52                                      // 000000004930: 7E0C0334
	s_mov_b64 s[60:61], 0                                      // 000000004934: BEBC0180
	v_readlane_b32 s82, v3, 8                                  // 000000004938: D2890052 00011103
	s_and_b32 s82, s82, 0xffffff                               // 000000004940: 8652FF52 00FFFFFF
	s_cmp_lt_u32 s82, s66                                      // 000000004948: BF0A4252
	s_cselect_b32 s20, s36, s60                                // 00000000494C: 85143C24
	v_readlane_b32 s82, v3, 9                                  // 000000004950: D2890052 00011303
	s_and_b32 s82, s82, 0xffffff                               // 000000004958: 8652FF52 00FFFFFF
	s_cmp_lt_u32 s82, s66                                      // 000000004960: BF0A4252
	s_cselect_b32 s21, s36, s60                                // 000000004964: 85153C24
	s_mov_b64 exec, s[20:21]                                   // 000000004968: BEFE0114
	buffer_store_dword v64, v6, s[8:11], 0 offen               // 00000000496C: E0701000 80024006
	s_mov_b64 exec, s[36:37]                                   // 000000004974: BEFE0124
	v_mov_b32_e32 v6, v53                                      // 000000004978: 7E0C0335
	s_mov_b64 s[60:61], 0                                      // 00000000497C: BEBC0180
	v_readlane_b32 s82, v3, 10                                 // 000000004980: D2890052 00011503
	s_and_b32 s82, s82, 0xffffff                               // 000000004988: 8652FF52 00FFFFFF
	s_cmp_lt_u32 s82, s66                                      // 000000004990: BF0A4252
	s_cselect_b32 s20, s36, s60                                // 000000004994: 85143C24
	v_readlane_b32 s82, v3, 11                                 // 000000004998: D2890052 00011703
	s_and_b32 s82, s82, 0xffffff                               // 0000000049A0: 8652FF52 00FFFFFF
	s_cmp_lt_u32 s82, s66                                      // 0000000049A8: BF0A4252
	s_cselect_b32 s21, s36, s60                                // 0000000049AC: 85153C24
	s_mov_b64 exec, s[20:21]                                   // 0000000049B0: BEFE0114
	buffer_store_dword v65, v6, s[8:11], 0 offen               // 0000000049B4: E0701000 80024106
	s_mov_b64 exec, s[36:37]                                   // 0000000049BC: BEFE0124
	v_mov_b32_e32 v6, v54                                      // 0000000049C0: 7E0C0336
	s_mov_b64 s[60:61], 0                                      // 0000000049C4: BEBC0180
	v_readlane_b32 s82, v3, 12                                 // 0000000049C8: D2890052 00011903
	s_and_b32 s82, s82, 0xffffff                               // 0000000049D0: 8652FF52 00FFFFFF
	s_cmp_lt_u32 s82, s66                                      // 0000000049D8: BF0A4252
	s_cselect_b32 s20, s36, s60                                // 0000000049DC: 85143C24
	v_readlane_b32 s82, v3, 13                                 // 0000000049E0: D2890052 00011B03
	s_and_b32 s82, s82, 0xffffff                               // 0000000049E8: 8652FF52 00FFFFFF
	s_cmp_lt_u32 s82, s66                                      // 0000000049F0: BF0A4252
	s_cselect_b32 s21, s36, s60                                // 0000000049F4: 85153C24
	s_mov_b64 exec, s[20:21]                                   // 0000000049F8: BEFE0114
	buffer_store_dword v66, v6, s[8:11], 0 offen               // 0000000049FC: E0701000 80024206
	s_mov_b64 exec, s[36:37]                                   // 000000004A04: BEFE0124
	v_mov_b32_e32 v6, v55                                      // 000000004A08: 7E0C0337
	s_mov_b64 s[60:61], 0                                      // 000000004A0C: BEBC0180
	v_readlane_b32 s82, v3, 14                                 // 000000004A10: D2890052 00011D03
	s_and_b32 s82, s82, 0xffffff                               // 000000004A18: 8652FF52 00FFFFFF
	s_cmp_lt_u32 s82, s66                                      // 000000004A20: BF0A4252
	s_cselect_b32 s20, s36, s60                                // 000000004A24: 85143C24
	v_readlane_b32 s82, v3, 15                                 // 000000004A28: D2890052 00011F03
	s_and_b32 s82, s82, 0xffffff                               // 000000004A30: 8652FF52 00FFFFFF
	s_cmp_lt_u32 s82, s66                                      // 000000004A38: BF0A4252
	s_cselect_b32 s21, s36, s60                                // 000000004A3C: 85153C24
	s_mov_b64 exec, s[20:21]                                   // 000000004A40: BEFE0114
	buffer_store_dword v67, v6, s[8:11], 0 offen               // 000000004A44: E0701000 80024306
	s_mov_b64 exec, s[36:37]                                   // 000000004A4C: BEFE0124
	v_mov_b32_e32 v6, v56                                      // 000000004A50: 7E0C0338
	s_mov_b64 s[60:61], 0                                      // 000000004A54: BEBC0180
	v_readlane_b32 s82, v3, 16                                 // 000000004A58: D2890052 00012103
	s_and_b32 s82, s82, 0xffffff                               // 000000004A60: 8652FF52 00FFFFFF
	s_cmp_lt_u32 s82, s66                                      // 000000004A68: BF0A4252
	s_cselect_b32 s20, s36, s60                                // 000000004A6C: 85143C24
	v_readlane_b32 s82, v3, 17                                 // 000000004A70: D2890052 00012303
	s_and_b32 s82, s82, 0xffffff                               // 000000004A78: 8652FF52 00FFFFFF
	s_cmp_lt_u32 s82, s66                                      // 000000004A80: BF0A4252
	s_cselect_b32 s21, s36, s60                                // 000000004A84: 85153C24
	s_mov_b64 exec, s[20:21]                                   // 000000004A88: BEFE0114
	buffer_store_dword v68, v6, s[8:11], 0 offen               // 000000004A8C: E0701000 80024406
	s_mov_b64 exec, s[36:37]                                   // 000000004A94: BEFE0124
	v_mov_b32_e32 v6, v57                                      // 000000004A98: 7E0C0339
	s_mov_b64 s[60:61], 0                                      // 000000004A9C: BEBC0180
	v_readlane_b32 s82, v3, 18                                 // 000000004AA0: D2890052 00012503
	s_and_b32 s82, s82, 0xffffff                               // 000000004AA8: 8652FF52 00FFFFFF
	s_cmp_lt_u32 s82, s66                                      // 000000004AB0: BF0A4252
	s_cselect_b32 s20, s36, s60                                // 000000004AB4: 85143C24
	v_readlane_b32 s82, v3, 19                                 // 000000004AB8: D2890052 00012703
	s_and_b32 s82, s82, 0xffffff                               // 000000004AC0: 8652FF52 00FFFFFF
	s_cmp_lt_u32 s82, s66                                      // 000000004AC8: BF0A4252
	s_cselect_b32 s21, s36, s60                                // 000000004ACC: 85153C24
	s_mov_b64 exec, s[20:21]                                   // 000000004AD0: BEFE0114
	buffer_store_dword v69, v6, s[8:11], 0 offen               // 000000004AD4: E0701000 80024506
	s_mov_b64 exec, s[36:37]                                   // 000000004ADC: BEFE0124
	s_branch label_167B                                        // 000000004AE0: BF820E3F

0000000000004ae4 <label_0839>:
	ds_write_b64 v20, v[60:61]                                 // 000000004AE4: D89A0000 00003C14
	ds_write_b64 v20, v[64:65] offset:2176                     // 000000004AEC: D89A0880 00004014
	ds_write_b64 v20, v[68:69] offset:4352                     // 000000004AF4: D89A1100 00004414
	ds_write_b64 v20, v[72:73] offset:6528                     // 000000004AFC: D89A1980 00004814
	ds_write_b64 v20, v[76:77] offset:8704                     // 000000004B04: D89A2200 00004C14
	v_lshrrev_b32_e32 v4, 5, v0                                // 000000004B0C: 20080085
	v_xor_b32_e32 v5, 1, v4                                    // 000000004B10: 2A0A0881
	s_mul_i32 s60, s65, 2                                      // 000000004B14: 923C8241
	s_cmp_eq_u32 s88, 0                                        // 000000004B18: BF068058
	s_cselect_b32 s61, 1, 4                                    // 000000004B1C: 853D8481
	s_mul_i32 s60, s61, s60                                    // 000000004B20: 923C3C3D
	v_readlane_b32 s82, v3, 0                                  // 000000004B24: D2890052 00010103
	s_lshr_b32 s61, s82, 24                                    // 000000004B2C: 8F3D9852
	s_and_b32 s82, s82, 0xffffff                               // 000000004B30: 8652FF52 00FFFFFF
	s_mul_i32 s82, s82, s71                                    // 000000004B38: 92524752
	s_mul_i32 s61, s60, s61                                    // 000000004B3C: 923D3D3C
	s_add_u32 s82, s82, s61                                    // 000000004B40: 80523D52
	v_mul_lo_u32 v6, v5, s82                                   // 000000004B44: D2850006 0000A505
	v_readlane_b32 s82, v3, 1                                  // 000000004B4C: D2890052 00010303
	s_lshr_b32 s61, s82, 24                                    // 000000004B54: 8F3D9852
	s_and_b32 s82, s82, 0xffffff                               // 000000004B58: 8652FF52 00FFFFFF
	s_mul_i32 s82, s82, s71                                    // 000000004B60: 92524752
	s_mul_i32 s61, s60, s61                                    // 000000004B64: 923D3D3C
	s_add_u32 s82, s82, s61                                    // 000000004B68: 80523D52
	v_mul_lo_u32 v7, v4, s82                                   // 000000004B6C: D2850007 0000A504
	v_add_u32_e32 v48, v6, v7                                  // 000000004B74: 68600F06
	v_readlane_b32 s82, v3, 2                                  // 000000004B78: D2890052 00010503
	s_lshr_b32 s61, s82, 24                                    // 000000004B80: 8F3D9852
	s_and_b32 s82, s82, 0xffffff                               // 000000004B84: 8652FF52 00FFFFFF
	s_mul_i32 s82, s82, s71                                    // 000000004B8C: 92524752
	s_mul_i32 s61, s60, s61                                    // 000000004B90: 923D3D3C
	s_add_u32 s82, s82, s61                                    // 000000004B94: 80523D52
	v_mul_lo_u32 v6, v5, s82                                   // 000000004B98: D2850006 0000A505
	v_readlane_b32 s82, v3, 3                                  // 000000004BA0: D2890052 00010703
	s_lshr_b32 s61, s82, 24                                    // 000000004BA8: 8F3D9852
	s_and_b32 s82, s82, 0xffffff                               // 000000004BAC: 8652FF52 00FFFFFF
	s_mul_i32 s82, s82, s71                                    // 000000004BB4: 92524752
	s_mul_i32 s61, s60, s61                                    // 000000004BB8: 923D3D3C
	s_add_u32 s82, s82, s61                                    // 000000004BBC: 80523D52
	v_mul_lo_u32 v7, v4, s82                                   // 000000004BC0: D2850007 0000A504
	v_add_u32_e32 v49, v6, v7                                  // 000000004BC8: 68620F06
	v_readlane_b32 s82, v3, 4                                  // 000000004BCC: D2890052 00010903
	s_lshr_b32 s61, s82, 24                                    // 000000004BD4: 8F3D9852
	s_and_b32 s82, s82, 0xffffff                               // 000000004BD8: 8652FF52 00FFFFFF
	s_mul_i32 s82, s82, s71                                    // 000000004BE0: 92524752
	s_mul_i32 s61, s60, s61                                    // 000000004BE4: 923D3D3C
	s_add_u32 s82, s82, s61                                    // 000000004BE8: 80523D52
	v_mul_lo_u32 v6, v5, s82                                   // 000000004BEC: D2850006 0000A505
	v_readlane_b32 s82, v3, 5                                  // 000000004BF4: D2890052 00010B03
	s_lshr_b32 s61, s82, 24                                    // 000000004BFC: 8F3D9852
	s_and_b32 s82, s82, 0xffffff                               // 000000004C00: 8652FF52 00FFFFFF
	s_mul_i32 s82, s82, s71                                    // 000000004C08: 92524752
	s_mul_i32 s61, s60, s61                                    // 000000004C0C: 923D3D3C
	s_add_u32 s82, s82, s61                                    // 000000004C10: 80523D52
	v_mul_lo_u32 v7, v4, s82                                   // 000000004C14: D2850007 0000A504
	v_add_u32_e32 v50, v6, v7                                  // 000000004C1C: 68640F06
	v_readlane_b32 s82, v3, 6                                  // 000000004C20: D2890052 00010D03
	s_lshr_b32 s61, s82, 24                                    // 000000004C28: 8F3D9852
	s_and_b32 s82, s82, 0xffffff                               // 000000004C2C: 8652FF52 00FFFFFF
	s_mul_i32 s82, s82, s71                                    // 000000004C34: 92524752
	s_mul_i32 s61, s60, s61                                    // 000000004C38: 923D3D3C
	s_add_u32 s82, s82, s61                                    // 000000004C3C: 80523D52
	v_mul_lo_u32 v6, v5, s82                                   // 000000004C40: D2850006 0000A505
	v_readlane_b32 s82, v3, 7                                  // 000000004C48: D2890052 00010F03
	s_lshr_b32 s61, s82, 24                                    // 000000004C50: 8F3D9852
	s_and_b32 s82, s82, 0xffffff                               // 000000004C54: 8652FF52 00FFFFFF
	s_mul_i32 s82, s82, s71                                    // 000000004C5C: 92524752
	s_mul_i32 s61, s60, s61                                    // 000000004C60: 923D3D3C
	s_add_u32 s82, s82, s61                                    // 000000004C64: 80523D52
	v_mul_lo_u32 v7, v4, s82                                   // 000000004C68: D2850007 0000A504
	v_add_u32_e32 v51, v6, v7                                  // 000000004C70: 68660F06
	v_readlane_b32 s82, v3, 8                                  // 000000004C74: D2890052 00011103
	s_lshr_b32 s61, s82, 24                                    // 000000004C7C: 8F3D9852
	s_and_b32 s82, s82, 0xffffff                               // 000000004C80: 8652FF52 00FFFFFF
	s_mul_i32 s82, s82, s71                                    // 000000004C88: 92524752
	s_mul_i32 s61, s60, s61                                    // 000000004C8C: 923D3D3C
	s_add_u32 s82, s82, s61                                    // 000000004C90: 80523D52
	v_mul_lo_u32 v6, v5, s82                                   // 000000004C94: D2850006 0000A505
	v_readlane_b32 s82, v3, 9                                  // 000000004C9C: D2890052 00011303
	s_lshr_b32 s61, s82, 24                                    // 000000004CA4: 8F3D9852
	s_and_b32 s82, s82, 0xffffff                               // 000000004CA8: 8652FF52 00FFFFFF
	s_mul_i32 s82, s82, s71                                    // 000000004CB0: 92524752
	s_mul_i32 s61, s60, s61                                    // 000000004CB4: 923D3D3C
	s_add_u32 s82, s82, s61                                    // 000000004CB8: 80523D52
	v_mul_lo_u32 v7, v4, s82                                   // 000000004CBC: D2850007 0000A504
	v_add_u32_e32 v52, v6, v7                                  // 000000004CC4: 68680F06
	v_readlane_b32 s82, v3, 10                                 // 000000004CC8: D2890052 00011503
	s_lshr_b32 s61, s82, 24                                    // 000000004CD0: 8F3D9852
	s_and_b32 s82, s82, 0xffffff                               // 000000004CD4: 8652FF52 00FFFFFF
	s_mul_i32 s82, s82, s71                                    // 000000004CDC: 92524752
	s_mul_i32 s61, s60, s61                                    // 000000004CE0: 923D3D3C
	s_add_u32 s82, s82, s61                                    // 000000004CE4: 80523D52
	v_mul_lo_u32 v6, v5, s82                                   // 000000004CE8: D2850006 0000A505
	v_readlane_b32 s82, v3, 11                                 // 000000004CF0: D2890052 00011703
	s_lshr_b32 s61, s82, 24                                    // 000000004CF8: 8F3D9852
	s_and_b32 s82, s82, 0xffffff                               // 000000004CFC: 8652FF52 00FFFFFF
	s_mul_i32 s82, s82, s71                                    // 000000004D04: 92524752
	s_mul_i32 s61, s60, s61                                    // 000000004D08: 923D3D3C
	s_add_u32 s82, s82, s61                                    // 000000004D0C: 80523D52
	v_mul_lo_u32 v7, v4, s82                                   // 000000004D10: D2850007 0000A504
	v_add_u32_e32 v53, v6, v7                                  // 000000004D18: 686A0F06
	v_readlane_b32 s82, v3, 12                                 // 000000004D1C: D2890052 00011903
	s_lshr_b32 s61, s82, 24                                    // 000000004D24: 8F3D9852
	s_and_b32 s82, s82, 0xffffff                               // 000000004D28: 8652FF52 00FFFFFF
	s_mul_i32 s82, s82, s71                                    // 000000004D30: 92524752
	s_mul_i32 s61, s60, s61                                    // 000000004D34: 923D3D3C
	s_add_u32 s82, s82, s61                                    // 000000004D38: 80523D52
	v_mul_lo_u32 v6, v5, s82                                   // 000000004D3C: D2850006 0000A505
	v_readlane_b32 s82, v3, 13                                 // 000000004D44: D2890052 00011B03
	s_lshr_b32 s61, s82, 24                                    // 000000004D4C: 8F3D9852
	s_and_b32 s82, s82, 0xffffff                               // 000000004D50: 8652FF52 00FFFFFF
	s_mul_i32 s82, s82, s71                                    // 000000004D58: 92524752
	s_mul_i32 s61, s60, s61                                    // 000000004D5C: 923D3D3C
	s_add_u32 s82, s82, s61                                    // 000000004D60: 80523D52
	v_mul_lo_u32 v7, v4, s82                                   // 000000004D64: D2850007 0000A504
	v_add_u32_e32 v54, v6, v7                                  // 000000004D6C: 686C0F06
	v_readlane_b32 s82, v3, 14                                 // 000000004D70: D2890052 00011D03
	s_lshr_b32 s61, s82, 24                                    // 000000004D78: 8F3D9852
	s_and_b32 s82, s82, 0xffffff                               // 000000004D7C: 8652FF52 00FFFFFF
	s_mul_i32 s82, s82, s71                                    // 000000004D84: 92524752
	s_mul_i32 s61, s60, s61                                    // 000000004D88: 923D3D3C
	s_add_u32 s82, s82, s61                                    // 000000004D8C: 80523D52
	v_mul_lo_u32 v6, v5, s82                                   // 000000004D90: D2850006 0000A505
	v_readlane_b32 s82, v3, 15                                 // 000000004D98: D2890052 00011F03
	s_lshr_b32 s61, s82, 24                                    // 000000004DA0: 8F3D9852
	s_and_b32 s82, s82, 0xffffff                               // 000000004DA4: 8652FF52 00FFFFFF
	s_mul_i32 s82, s82, s71                                    // 000000004DAC: 92524752
	s_mul_i32 s61, s60, s61                                    // 000000004DB0: 923D3D3C
	s_add_u32 s82, s82, s61                                    // 000000004DB4: 80523D52
	v_mul_lo_u32 v7, v4, s82                                   // 000000004DB8: D2850007 0000A504
	v_add_u32_e32 v55, v6, v7                                  // 000000004DC0: 686E0F06
	v_readlane_b32 s82, v3, 16                                 // 000000004DC4: D2890052 00012103
	s_lshr_b32 s61, s82, 24                                    // 000000004DCC: 8F3D9852
	s_and_b32 s82, s82, 0xffffff                               // 000000004DD0: 8652FF52 00FFFFFF
	s_mul_i32 s82, s82, s71                                    // 000000004DD8: 92524752
	s_mul_i32 s61, s60, s61                                    // 000000004DDC: 923D3D3C
	s_add_u32 s82, s82, s61                                    // 000000004DE0: 80523D52
	v_mul_lo_u32 v6, v5, s82                                   // 000000004DE4: D2850006 0000A505
	v_readlane_b32 s82, v3, 17                                 // 000000004DEC: D2890052 00012303
	s_lshr_b32 s61, s82, 24                                    // 000000004DF4: 8F3D9852
	s_and_b32 s82, s82, 0xffffff                               // 000000004DF8: 8652FF52 00FFFFFF
	s_mul_i32 s82, s82, s71                                    // 000000004E00: 92524752
	s_mul_i32 s61, s60, s61                                    // 000000004E04: 923D3D3C
	s_add_u32 s82, s82, s61                                    // 000000004E08: 80523D52
	v_mul_lo_u32 v7, v4, s82                                   // 000000004E0C: D2850007 0000A504
	v_add_u32_e32 v56, v6, v7                                  // 000000004E14: 68700F06
	v_readlane_b32 s82, v3, 18                                 // 000000004E18: D2890052 00012503
	s_lshr_b32 s61, s82, 24                                    // 000000004E20: 8F3D9852
	s_and_b32 s82, s82, 0xffffff                               // 000000004E24: 8652FF52 00FFFFFF
	s_mul_i32 s82, s82, s71                                    // 000000004E2C: 92524752
	s_mul_i32 s61, s60, s61                                    // 000000004E30: 923D3D3C
	s_add_u32 s82, s82, s61                                    // 000000004E34: 80523D52
	v_mul_lo_u32 v6, v5, s82                                   // 000000004E38: D2850006 0000A505
	v_readlane_b32 s82, v3, 19                                 // 000000004E40: D2890052 00012703
	s_lshr_b32 s61, s82, 24                                    // 000000004E48: 8F3D9852
	s_and_b32 s82, s82, 0xffffff                               // 000000004E4C: 8652FF52 00FFFFFF
	s_mul_i32 s82, s82, s71                                    // 000000004E54: 92524752
	s_mul_i32 s61, s60, s61                                    // 000000004E58: 923D3D3C
	s_add_u32 s82, s82, s61                                    // 000000004E5C: 80523D52
	v_mul_lo_u32 v7, v4, s82                                   // 000000004E60: D2850007 0000A504
	v_add_u32_e32 v57, v6, v7                                  // 000000004E68: 68720F06
	v_and_b32_e32 v4, 31, v0                                   // 000000004E6C: 2608009F
	v_lshrrev_b32_e32 v4, 1, v4                                // 000000004E70: 20080881
	s_cmp_eq_u32 s88, 0                                        // 000000004E74: BF068058
	s_cselect_b32 s61, 2, 4                                    // 000000004E78: 853D8482
	v_mul_lo_u32 v4, v4, s61                                   // 000000004E7C: D2850004 00007B04
	v_and_b32_e64 v5, v0, 1                                    // 000000004E84: D1130005 00010300
	v_add_u32_e32 v4, v4, v5                                   // 000000004E8C: 68080B04
	v_lshlrev_b32_e32 v4, 2, v4                                // 000000004E90: 24080882
	v_add_u32_e32 v48, v48, v4                                 // 000000004E94: 68600930
	v_add_u32_e32 v49, v49, v4                                 // 000000004E98: 68620931
	v_add_u32_e32 v50, v50, v4                                 // 000000004E9C: 68640932
	v_add_u32_e32 v51, v51, v4                                 // 000000004EA0: 68660933
	v_add_u32_e32 v52, v52, v4                                 // 000000004EA4: 68680934
	v_add_u32_e32 v53, v53, v4                                 // 000000004EA8: 686A0935
	v_add_u32_e32 v54, v54, v4                                 // 000000004EAC: 686C0936
	v_add_u32_e32 v55, v55, v4                                 // 000000004EB0: 686E0937
	v_add_u32_e32 v56, v56, v4                                 // 000000004EB4: 68700938
	v_add_u32_e32 v57, v57, v4                                 // 000000004EB8: 68720939
	s_waitcnt lgkmcnt(0)                                       // 000000004EBC: BF8CC07F
	s_barrier                                                  // 000000004EC0: BF8A0000
	ds_read_b32 v60, v21                                       // 000000004EC4: D86C0000 3C000015
	ds_read_b32 v61, v21 offset:64                             // 000000004ECC: D86C0040 3D000015
	ds_read_b32 v64, v21 offset:2176                           // 000000004ED4: D86C0880 40000015
	ds_read_b32 v65, v21 offset:2240                           // 000000004EDC: D86C08C0 41000015
	ds_read_b32 v68, v21 offset:4352                           // 000000004EE4: D86C1100 44000015
	ds_read_b32 v69, v21 offset:4416                           // 000000004EEC: D86C1140 45000015
	ds_read_b32 v72, v21 offset:6528                           // 000000004EF4: D86C1980 48000015
	ds_read_b32 v73, v21 offset:6592                           // 000000004EFC: D86C19C0 49000015
	ds_read_b32 v76, v21 offset:8704                           // 000000004F04: D86C2200 4C000015
	ds_read_b32 v77, v21 offset:8768                           // 000000004F0C: D86C2240 4D000015
	s_waitcnt lgkmcnt(0)                                       // 000000004F14: BF8CC07F
	s_mov_b32 s36, -1                                          // 000000004F18: BEA400C1
	s_mov_b32 s37, -1                                          // 000000004F1C: BEA500C1
	v_mov_b32_e32 v7, 0                                        // 000000004F20: 7E0E0280
	s_mov_b64 exec, s[36:37]                                   // 000000004F24: BEFE0124
	v_mov_b32_e32 v6, v48                                      // 000000004F28: 7E0C0330
	s_mov_b64 s[60:61], 0                                      // 000000004F2C: BEBC0180
	v_readlane_b32 s82, v3, 0                                  // 000000004F30: D2890052 00010103
	s_and_b32 s82, s82, 0xffffff                               // 000000004F38: 8652FF52 00FFFFFF
	s_cmp_lt_u32 s82, s66                                      // 000000004F40: BF0A4252
	s_cselect_b32 s20, s36, s60                                // 000000004F44: 85143C24
	v_readlane_b32 s82, v3, 1                                  // 000000004F48: D2890052 00010303
	s_and_b32 s82, s82, 0xffffff                               // 000000004F50: 8652FF52 00FFFFFF
	s_cmp_lt_u32 s82, s66                                      // 000000004F58: BF0A4252
	s_cselect_b32 s21, s36, s60                                // 000000004F5C: 85153C24
	s_mov_b64 exec, s[20:21]                                   // 000000004F60: BEFE0114
	global_atomic_add_f32 v6, v60, s[8:9]                      // 000000004F64: DD348000 00083C06
	s_mov_b64 exec, s[36:37]                                   // 000000004F6C: BEFE0124
	v_mov_b32_e32 v6, v49                                      // 000000004F70: 7E0C0331
	s_mov_b64 s[60:61], 0                                      // 000000004F74: BEBC0180
	v_readlane_b32 s82, v3, 2                                  // 000000004F78: D2890052 00010503
	s_and_b32 s82, s82, 0xffffff                               // 000000004F80: 8652FF52 00FFFFFF
	s_cmp_lt_u32 s82, s66                                      // 000000004F88: BF0A4252
	s_cselect_b32 s20, s36, s60                                // 000000004F8C: 85143C24
	v_readlane_b32 s82, v3, 3                                  // 000000004F90: D2890052 00010703
	s_and_b32 s82, s82, 0xffffff                               // 000000004F98: 8652FF52 00FFFFFF
	s_cmp_lt_u32 s82, s66                                      // 000000004FA0: BF0A4252
	s_cselect_b32 s21, s36, s60                                // 000000004FA4: 85153C24
	s_mov_b64 exec, s[20:21]                                   // 000000004FA8: BEFE0114
	global_atomic_add_f32 v6, v61, s[8:9]                      // 000000004FAC: DD348000 00083D06
	s_mov_b64 exec, s[36:37]                                   // 000000004FB4: BEFE0124
	v_mov_b32_e32 v6, v50                                      // 000000004FB8: 7E0C0332
	s_mov_b64 s[60:61], 0                                      // 000000004FBC: BEBC0180
	v_readlane_b32 s82, v3, 4                                  // 000000004FC0: D2890052 00010903
	s_and_b32 s82, s82, 0xffffff                               // 000000004FC8: 8652FF52 00FFFFFF
	s_cmp_lt_u32 s82, s66                                      // 000000004FD0: BF0A4252
	s_cselect_b32 s20, s36, s60                                // 000000004FD4: 85143C24
	v_readlane_b32 s82, v3, 5                                  // 000000004FD8: D2890052 00010B03
	s_and_b32 s82, s82, 0xffffff                               // 000000004FE0: 8652FF52 00FFFFFF
	s_cmp_lt_u32 s82, s66                                      // 000000004FE8: BF0A4252
	s_cselect_b32 s21, s36, s60                                // 000000004FEC: 85153C24
	s_mov_b64 exec, s[20:21]                                   // 000000004FF0: BEFE0114
	global_atomic_add_f32 v6, v64, s[8:9]                      // 000000004FF4: DD348000 00084006
	s_mov_b64 exec, s[36:37]                                   // 000000004FFC: BEFE0124
	v_mov_b32_e32 v6, v51                                      // 000000005000: 7E0C0333
	s_mov_b64 s[60:61], 0                                      // 000000005004: BEBC0180
	v_readlane_b32 s82, v3, 6                                  // 000000005008: D2890052 00010D03
	s_and_b32 s82, s82, 0xffffff                               // 000000005010: 8652FF52 00FFFFFF
	s_cmp_lt_u32 s82, s66                                      // 000000005018: BF0A4252
	s_cselect_b32 s20, s36, s60                                // 00000000501C: 85143C24
	v_readlane_b32 s82, v3, 7                                  // 000000005020: D2890052 00010F03
	s_and_b32 s82, s82, 0xffffff                               // 000000005028: 8652FF52 00FFFFFF
	s_cmp_lt_u32 s82, s66                                      // 000000005030: BF0A4252
	s_cselect_b32 s21, s36, s60                                // 000000005034: 85153C24
	s_mov_b64 exec, s[20:21]                                   // 000000005038: BEFE0114
	global_atomic_add_f32 v6, v65, s[8:9]                      // 00000000503C: DD348000 00084106
	s_mov_b64 exec, s[36:37]                                   // 000000005044: BEFE0124
	v_mov_b32_e32 v6, v52                                      // 000000005048: 7E0C0334
	s_mov_b64 s[60:61], 0                                      // 00000000504C: BEBC0180
	v_readlane_b32 s82, v3, 8                                  // 000000005050: D2890052 00011103
	s_and_b32 s82, s82, 0xffffff                               // 000000005058: 8652FF52 00FFFFFF
	s_cmp_lt_u32 s82, s66                                      // 000000005060: BF0A4252
	s_cselect_b32 s20, s36, s60                                // 000000005064: 85143C24
	v_readlane_b32 s82, v3, 9                                  // 000000005068: D2890052 00011303
	s_and_b32 s82, s82, 0xffffff                               // 000000005070: 8652FF52 00FFFFFF
	s_cmp_lt_u32 s82, s66                                      // 000000005078: BF0A4252
	s_cselect_b32 s21, s36, s60                                // 00000000507C: 85153C24
	s_mov_b64 exec, s[20:21]                                   // 000000005080: BEFE0114
	global_atomic_add_f32 v6, v68, s[8:9]                      // 000000005084: DD348000 00084406
	s_mov_b64 exec, s[36:37]                                   // 00000000508C: BEFE0124
	v_mov_b32_e32 v6, v53                                      // 000000005090: 7E0C0335
	s_mov_b64 s[60:61], 0                                      // 000000005094: BEBC0180
	v_readlane_b32 s82, v3, 10                                 // 000000005098: D2890052 00011503
	s_and_b32 s82, s82, 0xffffff                               // 0000000050A0: 8652FF52 00FFFFFF
	s_cmp_lt_u32 s82, s66                                      // 0000000050A8: BF0A4252
	s_cselect_b32 s20, s36, s60                                // 0000000050AC: 85143C24
	v_readlane_b32 s82, v3, 11                                 // 0000000050B0: D2890052 00011703
	s_and_b32 s82, s82, 0xffffff                               // 0000000050B8: 8652FF52 00FFFFFF
	s_cmp_lt_u32 s82, s66                                      // 0000000050C0: BF0A4252
	s_cselect_b32 s21, s36, s60                                // 0000000050C4: 85153C24
	s_mov_b64 exec, s[20:21]                                   // 0000000050C8: BEFE0114
	global_atomic_add_f32 v6, v69, s[8:9]                      // 0000000050CC: DD348000 00084506
	s_mov_b64 exec, s[36:37]                                   // 0000000050D4: BEFE0124
	v_mov_b32_e32 v6, v54                                      // 0000000050D8: 7E0C0336
	s_mov_b64 s[60:61], 0                                      // 0000000050DC: BEBC0180
	v_readlane_b32 s82, v3, 12                                 // 0000000050E0: D2890052 00011903
	s_and_b32 s82, s82, 0xffffff                               // 0000000050E8: 8652FF52 00FFFFFF
	s_cmp_lt_u32 s82, s66                                      // 0000000050F0: BF0A4252
	s_cselect_b32 s20, s36, s60                                // 0000000050F4: 85143C24
	v_readlane_b32 s82, v3, 13                                 // 0000000050F8: D2890052 00011B03
	s_and_b32 s82, s82, 0xffffff                               // 000000005100: 8652FF52 00FFFFFF
	s_cmp_lt_u32 s82, s66                                      // 000000005108: BF0A4252
	s_cselect_b32 s21, s36, s60                                // 00000000510C: 85153C24
	s_mov_b64 exec, s[20:21]                                   // 000000005110: BEFE0114
	global_atomic_add_f32 v6, v72, s[8:9]                      // 000000005114: DD348000 00084806
	s_mov_b64 exec, s[36:37]                                   // 00000000511C: BEFE0124
	v_mov_b32_e32 v6, v55                                      // 000000005120: 7E0C0337
	s_mov_b64 s[60:61], 0                                      // 000000005124: BEBC0180
	v_readlane_b32 s82, v3, 14                                 // 000000005128: D2890052 00011D03
	s_and_b32 s82, s82, 0xffffff                               // 000000005130: 8652FF52 00FFFFFF
	s_cmp_lt_u32 s82, s66                                      // 000000005138: BF0A4252
	s_cselect_b32 s20, s36, s60                                // 00000000513C: 85143C24
	v_readlane_b32 s82, v3, 15                                 // 000000005140: D2890052 00011F03
	s_and_b32 s82, s82, 0xffffff                               // 000000005148: 8652FF52 00FFFFFF
	s_cmp_lt_u32 s82, s66                                      // 000000005150: BF0A4252
	s_cselect_b32 s21, s36, s60                                // 000000005154: 85153C24
	s_mov_b64 exec, s[20:21]                                   // 000000005158: BEFE0114
	global_atomic_add_f32 v6, v73, s[8:9]                      // 00000000515C: DD348000 00084906
	s_mov_b64 exec, s[36:37]                                   // 000000005164: BEFE0124
	v_mov_b32_e32 v6, v56                                      // 000000005168: 7E0C0338
	s_mov_b64 s[60:61], 0                                      // 00000000516C: BEBC0180
	v_readlane_b32 s82, v3, 16                                 // 000000005170: D2890052 00012103
	s_and_b32 s82, s82, 0xffffff                               // 000000005178: 8652FF52 00FFFFFF
	s_cmp_lt_u32 s82, s66                                      // 000000005180: BF0A4252
	s_cselect_b32 s20, s36, s60                                // 000000005184: 85143C24
	v_readlane_b32 s82, v3, 17                                 // 000000005188: D2890052 00012303
	s_and_b32 s82, s82, 0xffffff                               // 000000005190: 8652FF52 00FFFFFF
	s_cmp_lt_u32 s82, s66                                      // 000000005198: BF0A4252
	s_cselect_b32 s21, s36, s60                                // 00000000519C: 85153C24
	s_mov_b64 exec, s[20:21]                                   // 0000000051A0: BEFE0114
	global_atomic_add_f32 v6, v76, s[8:9]                      // 0000000051A4: DD348000 00084C06
	s_mov_b64 exec, s[36:37]                                   // 0000000051AC: BEFE0124
	v_mov_b32_e32 v6, v57                                      // 0000000051B0: 7E0C0339
	s_mov_b64 s[60:61], 0                                      // 0000000051B4: BEBC0180
	v_readlane_b32 s82, v3, 18                                 // 0000000051B8: D2890052 00012503
	s_and_b32 s82, s82, 0xffffff                               // 0000000051C0: 8652FF52 00FFFFFF
	s_cmp_lt_u32 s82, s66                                      // 0000000051C8: BF0A4252
	s_cselect_b32 s20, s36, s60                                // 0000000051CC: 85143C24
	v_readlane_b32 s82, v3, 19                                 // 0000000051D0: D2890052 00012703
	s_and_b32 s82, s82, 0xffffff                               // 0000000051D8: 8652FF52 00FFFFFF
	s_cmp_lt_u32 s82, s66                                      // 0000000051E0: BF0A4252
	s_cselect_b32 s21, s36, s60                                // 0000000051E4: 85153C24
	s_mov_b64 exec, s[20:21]                                   // 0000000051E8: BEFE0114
	global_atomic_add_f32 v6, v77, s[8:9]                      // 0000000051EC: DD348000 00084D06
	s_mov_b64 exec, s[36:37]                                   // 0000000051F4: BEFE0124
	ds_write_b64 v20, v[62:63]                                 // 0000000051F8: D89A0000 00003E14
	ds_write_b64 v20, v[66:67] offset:2176                     // 000000005200: D89A0880 00004214
	ds_write_b64 v20, v[70:71] offset:4352                     // 000000005208: D89A1100 00004614
	ds_write_b64 v20, v[74:75] offset:6528                     // 000000005210: D89A1980 00004A14
	ds_write_b64 v20, v[78:79] offset:8704                     // 000000005218: D89A2200 00004E14
	s_waitcnt lgkmcnt(0)                                       // 000000005220: BF8CC07F
	s_barrier                                                  // 000000005224: BF8A0000
	ds_read_b32 v62, v21                                       // 000000005228: D86C0000 3E000015
	ds_read_b32 v63, v21 offset:64                             // 000000005230: D86C0040 3F000015
	ds_read_b32 v66, v21 offset:2176                           // 000000005238: D86C0880 42000015
	ds_read_b32 v67, v21 offset:2240                           // 000000005240: D86C08C0 43000015
	ds_read_b32 v70, v21 offset:4352                           // 000000005248: D86C1100 46000015
	ds_read_b32 v71, v21 offset:4416                           // 000000005250: D86C1140 47000015
	ds_read_b32 v74, v21 offset:6528                           // 000000005258: D86C1980 4A000015
	ds_read_b32 v75, v21 offset:6592                           // 000000005260: D86C19C0 4B000015
	ds_read_b32 v78, v21 offset:8704                           // 000000005268: D86C2200 4E000015
	ds_read_b32 v79, v21 offset:8768                           // 000000005270: D86C2240 4F000015
	s_waitcnt lgkmcnt(0)                                       // 000000005278: BF8CC07F
	v_mov_b32_e32 v7, 0                                        // 00000000527C: 7E0E0280
	s_mov_b64 exec, s[36:37]                                   // 000000005280: BEFE0124
	v_mov_b32_e32 v6, v48                                      // 000000005284: 7E0C0330
	s_mov_b64 s[60:61], 0                                      // 000000005288: BEBC0180
	v_readlane_b32 s82, v3, 0                                  // 00000000528C: D2890052 00010103
	s_and_b32 s82, s82, 0xffffff                               // 000000005294: 8652FF52 00FFFFFF
	s_cmp_lt_u32 s82, s66                                      // 00000000529C: BF0A4252
	s_cselect_b32 s20, s36, s60                                // 0000000052A0: 85143C24
	v_readlane_b32 s82, v3, 1                                  // 0000000052A4: D2890052 00010303
	s_and_b32 s82, s82, 0xffffff                               // 0000000052AC: 8652FF52 00FFFFFF
	s_cmp_lt_u32 s82, s66                                      // 0000000052B4: BF0A4252
	s_cselect_b32 s21, s36, s60                                // 0000000052B8: 85153C24
	s_mov_b64 exec, s[20:21]                                   // 0000000052BC: BEFE0114
	global_atomic_add_f32 v6, v62, s[8:9] offset:8             // 0000000052C0: DD348008 00083E06
	s_mov_b64 exec, s[36:37]                                   // 0000000052C8: BEFE0124
	v_mov_b32_e32 v6, v49                                      // 0000000052CC: 7E0C0331
	s_mov_b64 s[60:61], 0                                      // 0000000052D0: BEBC0180
	v_readlane_b32 s82, v3, 2                                  // 0000000052D4: D2890052 00010503
	s_and_b32 s82, s82, 0xffffff                               // 0000000052DC: 8652FF52 00FFFFFF
	s_cmp_lt_u32 s82, s66                                      // 0000000052E4: BF0A4252
	s_cselect_b32 s20, s36, s60                                // 0000000052E8: 85143C24
	v_readlane_b32 s82, v3, 3                                  // 0000000052EC: D2890052 00010703
	s_and_b32 s82, s82, 0xffffff                               // 0000000052F4: 8652FF52 00FFFFFF
	s_cmp_lt_u32 s82, s66                                      // 0000000052FC: BF0A4252
	s_cselect_b32 s21, s36, s60                                // 000000005300: 85153C24
	s_mov_b64 exec, s[20:21]                                   // 000000005304: BEFE0114
	global_atomic_add_f32 v6, v63, s[8:9] offset:8             // 000000005308: DD348008 00083F06
	s_mov_b64 exec, s[36:37]                                   // 000000005310: BEFE0124
	v_mov_b32_e32 v6, v50                                      // 000000005314: 7E0C0332
	s_mov_b64 s[60:61], 0                                      // 000000005318: BEBC0180
	v_readlane_b32 s82, v3, 4                                  // 00000000531C: D2890052 00010903
	s_and_b32 s82, s82, 0xffffff                               // 000000005324: 8652FF52 00FFFFFF
	s_cmp_lt_u32 s82, s66                                      // 00000000532C: BF0A4252
	s_cselect_b32 s20, s36, s60                                // 000000005330: 85143C24
	v_readlane_b32 s82, v3, 5                                  // 000000005334: D2890052 00010B03
	s_and_b32 s82, s82, 0xffffff                               // 00000000533C: 8652FF52 00FFFFFF
	s_cmp_lt_u32 s82, s66                                      // 000000005344: BF0A4252
	s_cselect_b32 s21, s36, s60                                // 000000005348: 85153C24
	s_mov_b64 exec, s[20:21]                                   // 00000000534C: BEFE0114
	global_atomic_add_f32 v6, v66, s[8:9] offset:8             // 000000005350: DD348008 00084206
	s_mov_b64 exec, s[36:37]                                   // 000000005358: BEFE0124
	v_mov_b32_e32 v6, v51                                      // 00000000535C: 7E0C0333
	s_mov_b64 s[60:61], 0                                      // 000000005360: BEBC0180
	v_readlane_b32 s82, v3, 6                                  // 000000005364: D2890052 00010D03
	s_and_b32 s82, s82, 0xffffff                               // 00000000536C: 8652FF52 00FFFFFF
	s_cmp_lt_u32 s82, s66                                      // 000000005374: BF0A4252
	s_cselect_b32 s20, s36, s60                                // 000000005378: 85143C24
	v_readlane_b32 s82, v3, 7                                  // 00000000537C: D2890052 00010F03
	s_and_b32 s82, s82, 0xffffff                               // 000000005384: 8652FF52 00FFFFFF
	s_cmp_lt_u32 s82, s66                                      // 00000000538C: BF0A4252
	s_cselect_b32 s21, s36, s60                                // 000000005390: 85153C24
	s_mov_b64 exec, s[20:21]                                   // 000000005394: BEFE0114
	global_atomic_add_f32 v6, v67, s[8:9] offset:8             // 000000005398: DD348008 00084306
	s_mov_b64 exec, s[36:37]                                   // 0000000053A0: BEFE0124
	v_mov_b32_e32 v6, v52                                      // 0000000053A4: 7E0C0334
	s_mov_b64 s[60:61], 0                                      // 0000000053A8: BEBC0180
	v_readlane_b32 s82, v3, 8                                  // 0000000053AC: D2890052 00011103
	s_and_b32 s82, s82, 0xffffff                               // 0000000053B4: 8652FF52 00FFFFFF
	s_cmp_lt_u32 s82, s66                                      // 0000000053BC: BF0A4252
	s_cselect_b32 s20, s36, s60                                // 0000000053C0: 85143C24
	v_readlane_b32 s82, v3, 9                                  // 0000000053C4: D2890052 00011303
	s_and_b32 s82, s82, 0xffffff                               // 0000000053CC: 8652FF52 00FFFFFF
	s_cmp_lt_u32 s82, s66                                      // 0000000053D4: BF0A4252
	s_cselect_b32 s21, s36, s60                                // 0000000053D8: 85153C24
	s_mov_b64 exec, s[20:21]                                   // 0000000053DC: BEFE0114
	global_atomic_add_f32 v6, v70, s[8:9] offset:8             // 0000000053E0: DD348008 00084606
	s_mov_b64 exec, s[36:37]                                   // 0000000053E8: BEFE0124
	v_mov_b32_e32 v6, v53                                      // 0000000053EC: 7E0C0335
	s_mov_b64 s[60:61], 0                                      // 0000000053F0: BEBC0180
	v_readlane_b32 s82, v3, 10                                 // 0000000053F4: D2890052 00011503
	s_and_b32 s82, s82, 0xffffff                               // 0000000053FC: 8652FF52 00FFFFFF
	s_cmp_lt_u32 s82, s66                                      // 000000005404: BF0A4252
	s_cselect_b32 s20, s36, s60                                // 000000005408: 85143C24
	v_readlane_b32 s82, v3, 11                                 // 00000000540C: D2890052 00011703
	s_and_b32 s82, s82, 0xffffff                               // 000000005414: 8652FF52 00FFFFFF
	s_cmp_lt_u32 s82, s66                                      // 00000000541C: BF0A4252
	s_cselect_b32 s21, s36, s60                                // 000000005420: 85153C24
	s_mov_b64 exec, s[20:21]                                   // 000000005424: BEFE0114
	global_atomic_add_f32 v6, v71, s[8:9] offset:8             // 000000005428: DD348008 00084706
	s_mov_b64 exec, s[36:37]                                   // 000000005430: BEFE0124
	v_mov_b32_e32 v6, v54                                      // 000000005434: 7E0C0336
	s_mov_b64 s[60:61], 0                                      // 000000005438: BEBC0180
	v_readlane_b32 s82, v3, 12                                 // 00000000543C: D2890052 00011903
	s_and_b32 s82, s82, 0xffffff                               // 000000005444: 8652FF52 00FFFFFF
	s_cmp_lt_u32 s82, s66                                      // 00000000544C: BF0A4252
	s_cselect_b32 s20, s36, s60                                // 000000005450: 85143C24
	v_readlane_b32 s82, v3, 13                                 // 000000005454: D2890052 00011B03
	s_and_b32 s82, s82, 0xffffff                               // 00000000545C: 8652FF52 00FFFFFF
	s_cmp_lt_u32 s82, s66                                      // 000000005464: BF0A4252
	s_cselect_b32 s21, s36, s60                                // 000000005468: 85153C24
	s_mov_b64 exec, s[20:21]                                   // 00000000546C: BEFE0114
	global_atomic_add_f32 v6, v74, s[8:9] offset:8             // 000000005470: DD348008 00084A06
	s_mov_b64 exec, s[36:37]                                   // 000000005478: BEFE0124
	v_mov_b32_e32 v6, v55                                      // 00000000547C: 7E0C0337
	s_mov_b64 s[60:61], 0                                      // 000000005480: BEBC0180
	v_readlane_b32 s82, v3, 14                                 // 000000005484: D2890052 00011D03
	s_and_b32 s82, s82, 0xffffff                               // 00000000548C: 8652FF52 00FFFFFF
	s_cmp_lt_u32 s82, s66                                      // 000000005494: BF0A4252
	s_cselect_b32 s20, s36, s60                                // 000000005498: 85143C24
	v_readlane_b32 s82, v3, 15                                 // 00000000549C: D2890052 00011F03
	s_and_b32 s82, s82, 0xffffff                               // 0000000054A4: 8652FF52 00FFFFFF
	s_cmp_lt_u32 s82, s66                                      // 0000000054AC: BF0A4252
	s_cselect_b32 s21, s36, s60                                // 0000000054B0: 85153C24
	s_mov_b64 exec, s[20:21]                                   // 0000000054B4: BEFE0114
	global_atomic_add_f32 v6, v75, s[8:9] offset:8             // 0000000054B8: DD348008 00084B06
	s_mov_b64 exec, s[36:37]                                   // 0000000054C0: BEFE0124
	v_mov_b32_e32 v6, v56                                      // 0000000054C4: 7E0C0338
	s_mov_b64 s[60:61], 0                                      // 0000000054C8: BEBC0180
	v_readlane_b32 s82, v3, 16                                 // 0000000054CC: D2890052 00012103
	s_and_b32 s82, s82, 0xffffff                               // 0000000054D4: 8652FF52 00FFFFFF
	s_cmp_lt_u32 s82, s66                                      // 0000000054DC: BF0A4252
	s_cselect_b32 s20, s36, s60                                // 0000000054E0: 85143C24
	v_readlane_b32 s82, v3, 17                                 // 0000000054E4: D2890052 00012303
	s_and_b32 s82, s82, 0xffffff                               // 0000000054EC: 8652FF52 00FFFFFF
	s_cmp_lt_u32 s82, s66                                      // 0000000054F4: BF0A4252
	s_cselect_b32 s21, s36, s60                                // 0000000054F8: 85153C24
	s_mov_b64 exec, s[20:21]                                   // 0000000054FC: BEFE0114
	global_atomic_add_f32 v6, v78, s[8:9] offset:8             // 000000005500: DD348008 00084E06
	s_mov_b64 exec, s[36:37]                                   // 000000005508: BEFE0124
	v_mov_b32_e32 v6, v57                                      // 00000000550C: 7E0C0339
	s_mov_b64 s[60:61], 0                                      // 000000005510: BEBC0180
	v_readlane_b32 s82, v3, 18                                 // 000000005514: D2890052 00012503
	s_and_b32 s82, s82, 0xffffff                               // 00000000551C: 8652FF52 00FFFFFF
	s_cmp_lt_u32 s82, s66                                      // 000000005524: BF0A4252
	s_cselect_b32 s20, s36, s60                                // 000000005528: 85143C24
	v_readlane_b32 s82, v3, 19                                 // 00000000552C: D2890052 00012703
	s_and_b32 s82, s82, 0xffffff                               // 000000005534: 8652FF52 00FFFFFF
	s_cmp_lt_u32 s82, s66                                      // 00000000553C: BF0A4252
	s_cselect_b32 s21, s36, s60                                // 000000005540: 85153C24
	s_mov_b64 exec, s[20:21]                                   // 000000005544: BEFE0114
	global_atomic_add_f32 v6, v79, s[8:9] offset:8             // 000000005548: DD348008 00084F06
	s_mov_b64 exec, s[36:37]                                   // 000000005550: BEFE0124
	ds_write_b64 v20, v[80:81]                                 // 000000005554: D89A0000 00005014
	ds_write_b64 v20, v[84:85] offset:2176                     // 00000000555C: D89A0880 00005414
	ds_write_b64 v20, v[88:89] offset:4352                     // 000000005564: D89A1100 00005814
	ds_write_b64 v20, v[92:93] offset:6528                     // 00000000556C: D89A1980 00005C14
	ds_write_b64 v20, v[96:97] offset:8704                     // 000000005574: D89A2200 00006014
	s_waitcnt lgkmcnt(0)                                       // 00000000557C: BF8CC07F
	s_barrier                                                  // 000000005580: BF8A0000
	ds_read_b32 v80, v21                                       // 000000005584: D86C0000 50000015
	ds_read_b32 v81, v21 offset:64                             // 00000000558C: D86C0040 51000015
	ds_read_b32 v84, v21 offset:2176                           // 000000005594: D86C0880 54000015
	ds_read_b32 v85, v21 offset:2240                           // 00000000559C: D86C08C0 55000015
	ds_read_b32 v88, v21 offset:4352                           // 0000000055A4: D86C1100 58000015
	ds_read_b32 v89, v21 offset:4416                           // 0000000055AC: D86C1140 59000015
	ds_read_b32 v92, v21 offset:6528                           // 0000000055B4: D86C1980 5C000015
	ds_read_b32 v93, v21 offset:6592                           // 0000000055BC: D86C19C0 5D000015
	ds_read_b32 v96, v21 offset:8704                           // 0000000055C4: D86C2200 60000015
	ds_read_b32 v97, v21 offset:8768                           // 0000000055CC: D86C2240 61000015
	s_mul_i32 s60, s65, 4                                      // 0000000055D4: 923C8441
	s_add_u32 s8, s60, s8                                      // 0000000055D8: 8008083C
	s_addc_u32 s9, 0, s9                                       // 0000000055DC: 82090980
	s_waitcnt lgkmcnt(0)                                       // 0000000055E0: BF8CC07F
	v_mov_b32_e32 v7, 0                                        // 0000000055E4: 7E0E0280
	s_mov_b64 exec, s[36:37]                                   // 0000000055E8: BEFE0124
	v_mov_b32_e32 v6, v48                                      // 0000000055EC: 7E0C0330
	s_mov_b64 s[60:61], 0                                      // 0000000055F0: BEBC0180
	v_readlane_b32 s82, v3, 0                                  // 0000000055F4: D2890052 00010103
	s_and_b32 s82, s82, 0xffffff                               // 0000000055FC: 8652FF52 00FFFFFF
	s_cmp_lt_u32 s82, s66                                      // 000000005604: BF0A4252
	s_cselect_b32 s20, s36, s60                                // 000000005608: 85143C24
	v_readlane_b32 s82, v3, 1                                  // 00000000560C: D2890052 00010303
	s_and_b32 s82, s82, 0xffffff                               // 000000005614: 8652FF52 00FFFFFF
	s_cmp_lt_u32 s82, s66                                      // 00000000561C: BF0A4252
	s_cselect_b32 s21, s36, s60                                // 000000005620: 85153C24
	s_mov_b64 exec, s[20:21]                                   // 000000005624: BEFE0114
	global_atomic_add_f32 v6, v80, s[8:9]                      // 000000005628: DD348000 00085006
	s_mov_b64 exec, s[36:37]                                   // 000000005630: BEFE0124
	v_mov_b32_e32 v6, v49                                      // 000000005634: 7E0C0331
	s_mov_b64 s[60:61], 0                                      // 000000005638: BEBC0180
	v_readlane_b32 s82, v3, 2                                  // 00000000563C: D2890052 00010503
	s_and_b32 s82, s82, 0xffffff                               // 000000005644: 8652FF52 00FFFFFF
	s_cmp_lt_u32 s82, s66                                      // 00000000564C: BF0A4252
	s_cselect_b32 s20, s36, s60                                // 000000005650: 85143C24
	v_readlane_b32 s82, v3, 3                                  // 000000005654: D2890052 00010703
	s_and_b32 s82, s82, 0xffffff                               // 00000000565C: 8652FF52 00FFFFFF
	s_cmp_lt_u32 s82, s66                                      // 000000005664: BF0A4252
	s_cselect_b32 s21, s36, s60                                // 000000005668: 85153C24
	s_mov_b64 exec, s[20:21]                                   // 00000000566C: BEFE0114
	global_atomic_add_f32 v6, v81, s[8:9]                      // 000000005670: DD348000 00085106
	s_mov_b64 exec, s[36:37]                                   // 000000005678: BEFE0124
	v_mov_b32_e32 v6, v50                                      // 00000000567C: 7E0C0332
	s_mov_b64 s[60:61], 0                                      // 000000005680: BEBC0180
	v_readlane_b32 s82, v3, 4                                  // 000000005684: D2890052 00010903
	s_and_b32 s82, s82, 0xffffff                               // 00000000568C: 8652FF52 00FFFFFF
	s_cmp_lt_u32 s82, s66                                      // 000000005694: BF0A4252
	s_cselect_b32 s20, s36, s60                                // 000000005698: 85143C24
	v_readlane_b32 s82, v3, 5                                  // 00000000569C: D2890052 00010B03
	s_and_b32 s82, s82, 0xffffff                               // 0000000056A4: 8652FF52 00FFFFFF
	s_cmp_lt_u32 s82, s66                                      // 0000000056AC: BF0A4252
	s_cselect_b32 s21, s36, s60                                // 0000000056B0: 85153C24
	s_mov_b64 exec, s[20:21]                                   // 0000000056B4: BEFE0114
	global_atomic_add_f32 v6, v84, s[8:9]                      // 0000000056B8: DD348000 00085406
	s_mov_b64 exec, s[36:37]                                   // 0000000056C0: BEFE0124
	v_mov_b32_e32 v6, v51                                      // 0000000056C4: 7E0C0333
	s_mov_b64 s[60:61], 0                                      // 0000000056C8: BEBC0180
	v_readlane_b32 s82, v3, 6                                  // 0000000056CC: D2890052 00010D03
	s_and_b32 s82, s82, 0xffffff                               // 0000000056D4: 8652FF52 00FFFFFF
	s_cmp_lt_u32 s82, s66                                      // 0000000056DC: BF0A4252
	s_cselect_b32 s20, s36, s60                                // 0000000056E0: 85143C24
	v_readlane_b32 s82, v3, 7                                  // 0000000056E4: D2890052 00010F03
	s_and_b32 s82, s82, 0xffffff                               // 0000000056EC: 8652FF52 00FFFFFF
	s_cmp_lt_u32 s82, s66                                      // 0000000056F4: BF0A4252
	s_cselect_b32 s21, s36, s60                                // 0000000056F8: 85153C24
	s_mov_b64 exec, s[20:21]                                   // 0000000056FC: BEFE0114
	global_atomic_add_f32 v6, v85, s[8:9]                      // 000000005700: DD348000 00085506
	s_mov_b64 exec, s[36:37]                                   // 000000005708: BEFE0124
	v_mov_b32_e32 v6, v52                                      // 00000000570C: 7E0C0334
	s_mov_b64 s[60:61], 0                                      // 000000005710: BEBC0180
	v_readlane_b32 s82, v3, 8                                  // 000000005714: D2890052 00011103
	s_and_b32 s82, s82, 0xffffff                               // 00000000571C: 8652FF52 00FFFFFF
	s_cmp_lt_u32 s82, s66                                      // 000000005724: BF0A4252
	s_cselect_b32 s20, s36, s60                                // 000000005728: 85143C24
	v_readlane_b32 s82, v3, 9                                  // 00000000572C: D2890052 00011303
	s_and_b32 s82, s82, 0xffffff                               // 000000005734: 8652FF52 00FFFFFF
	s_cmp_lt_u32 s82, s66                                      // 00000000573C: BF0A4252
	s_cselect_b32 s21, s36, s60                                // 000000005740: 85153C24
	s_mov_b64 exec, s[20:21]                                   // 000000005744: BEFE0114
	global_atomic_add_f32 v6, v88, s[8:9]                      // 000000005748: DD348000 00085806
	s_mov_b64 exec, s[36:37]                                   // 000000005750: BEFE0124
	v_mov_b32_e32 v6, v53                                      // 000000005754: 7E0C0335
	s_mov_b64 s[60:61], 0                                      // 000000005758: BEBC0180
	v_readlane_b32 s82, v3, 10                                 // 00000000575C: D2890052 00011503
	s_and_b32 s82, s82, 0xffffff                               // 000000005764: 8652FF52 00FFFFFF
	s_cmp_lt_u32 s82, s66                                      // 00000000576C: BF0A4252
	s_cselect_b32 s20, s36, s60                                // 000000005770: 85143C24
	v_readlane_b32 s82, v3, 11                                 // 000000005774: D2890052 00011703
	s_and_b32 s82, s82, 0xffffff                               // 00000000577C: 8652FF52 00FFFFFF
	s_cmp_lt_u32 s82, s66                                      // 000000005784: BF0A4252
	s_cselect_b32 s21, s36, s60                                // 000000005788: 85153C24
	s_mov_b64 exec, s[20:21]                                   // 00000000578C: BEFE0114
	global_atomic_add_f32 v6, v89, s[8:9]                      // 000000005790: DD348000 00085906
	s_mov_b64 exec, s[36:37]                                   // 000000005798: BEFE0124
	v_mov_b32_e32 v6, v54                                      // 00000000579C: 7E0C0336
	s_mov_b64 s[60:61], 0                                      // 0000000057A0: BEBC0180
	v_readlane_b32 s82, v3, 12                                 // 0000000057A4: D2890052 00011903
	s_and_b32 s82, s82, 0xffffff                               // 0000000057AC: 8652FF52 00FFFFFF
	s_cmp_lt_u32 s82, s66                                      // 0000000057B4: BF0A4252
	s_cselect_b32 s20, s36, s60                                // 0000000057B8: 85143C24
	v_readlane_b32 s82, v3, 13                                 // 0000000057BC: D2890052 00011B03
	s_and_b32 s82, s82, 0xffffff                               // 0000000057C4: 8652FF52 00FFFFFF
	s_cmp_lt_u32 s82, s66                                      // 0000000057CC: BF0A4252
	s_cselect_b32 s21, s36, s60                                // 0000000057D0: 85153C24
	s_mov_b64 exec, s[20:21]                                   // 0000000057D4: BEFE0114
	global_atomic_add_f32 v6, v92, s[8:9]                      // 0000000057D8: DD348000 00085C06
	s_mov_b64 exec, s[36:37]                                   // 0000000057E0: BEFE0124
	v_mov_b32_e32 v6, v55                                      // 0000000057E4: 7E0C0337
	s_mov_b64 s[60:61], 0                                      // 0000000057E8: BEBC0180
	v_readlane_b32 s82, v3, 14                                 // 0000000057EC: D2890052 00011D03
	s_and_b32 s82, s82, 0xffffff                               // 0000000057F4: 8652FF52 00FFFFFF
	s_cmp_lt_u32 s82, s66                                      // 0000000057FC: BF0A4252
	s_cselect_b32 s20, s36, s60                                // 000000005800: 85143C24
	v_readlane_b32 s82, v3, 15                                 // 000000005804: D2890052 00011F03
	s_and_b32 s82, s82, 0xffffff                               // 00000000580C: 8652FF52 00FFFFFF
	s_cmp_lt_u32 s82, s66                                      // 000000005814: BF0A4252
	s_cselect_b32 s21, s36, s60                                // 000000005818: 85153C24
	s_mov_b64 exec, s[20:21]                                   // 00000000581C: BEFE0114
	global_atomic_add_f32 v6, v93, s[8:9]                      // 000000005820: DD348000 00085D06
	s_mov_b64 exec, s[36:37]                                   // 000000005828: BEFE0124
	v_mov_b32_e32 v6, v56                                      // 00000000582C: 7E0C0338
	s_mov_b64 s[60:61], 0                                      // 000000005830: BEBC0180
	v_readlane_b32 s82, v3, 16                                 // 000000005834: D2890052 00012103
	s_and_b32 s82, s82, 0xffffff                               // 00000000583C: 8652FF52 00FFFFFF
	s_cmp_lt_u32 s82, s66                                      // 000000005844: BF0A4252
	s_cselect_b32 s20, s36, s60                                // 000000005848: 85143C24
	v_readlane_b32 s82, v3, 17                                 // 00000000584C: D2890052 00012303
	s_and_b32 s82, s82, 0xffffff                               // 000000005854: 8652FF52 00FFFFFF
	s_cmp_lt_u32 s82, s66                                      // 00000000585C: BF0A4252
	s_cselect_b32 s21, s36, s60                                // 000000005860: 85153C24
	s_mov_b64 exec, s[20:21]                                   // 000000005864: BEFE0114
	global_atomic_add_f32 v6, v96, s[8:9]                      // 000000005868: DD348000 00086006
	s_mov_b64 exec, s[36:37]                                   // 000000005870: BEFE0124
	v_mov_b32_e32 v6, v57                                      // 000000005874: 7E0C0339
	s_mov_b64 s[60:61], 0                                      // 000000005878: BEBC0180
	v_readlane_b32 s82, v3, 18                                 // 00000000587C: D2890052 00012503
	s_and_b32 s82, s82, 0xffffff                               // 000000005884: 8652FF52 00FFFFFF
	s_cmp_lt_u32 s82, s66                                      // 00000000588C: BF0A4252
	s_cselect_b32 s20, s36, s60                                // 000000005890: 85143C24
	v_readlane_b32 s82, v3, 19                                 // 000000005894: D2890052 00012703
	s_and_b32 s82, s82, 0xffffff                               // 00000000589C: 8652FF52 00FFFFFF
	s_cmp_lt_u32 s82, s66                                      // 0000000058A4: BF0A4252
	s_cselect_b32 s21, s36, s60                                // 0000000058A8: 85153C24
	s_mov_b64 exec, s[20:21]                                   // 0000000058AC: BEFE0114
	global_atomic_add_f32 v6, v97, s[8:9]                      // 0000000058B0: DD348000 00086106
	s_mov_b64 exec, s[36:37]                                   // 0000000058B8: BEFE0124
	ds_write_b64 v20, v[82:83]                                 // 0000000058BC: D89A0000 00005214
	ds_write_b64 v20, v[86:87] offset:2176                     // 0000000058C4: D89A0880 00005614
	ds_write_b64 v20, v[90:91] offset:4352                     // 0000000058CC: D89A1100 00005A14
	ds_write_b64 v20, v[94:95] offset:6528                     // 0000000058D4: D89A1980 00005E14
	ds_write_b64 v20, v[98:99] offset:8704                     // 0000000058DC: D89A2200 00006214
	s_waitcnt lgkmcnt(0)                                       // 0000000058E4: BF8CC07F
	s_barrier                                                  // 0000000058E8: BF8A0000
	ds_read_b32 v82, v21                                       // 0000000058EC: D86C0000 52000015
	ds_read_b32 v83, v21 offset:64                             // 0000000058F4: D86C0040 53000015
	ds_read_b32 v86, v21 offset:2176                           // 0000000058FC: D86C0880 56000015
	ds_read_b32 v87, v21 offset:2240                           // 000000005904: D86C08C0 57000015
	ds_read_b32 v90, v21 offset:4352                           // 00000000590C: D86C1100 5A000015
	ds_read_b32 v91, v21 offset:4416                           // 000000005914: D86C1140 5B000015
	ds_read_b32 v94, v21 offset:6528                           // 00000000591C: D86C1980 5E000015
	ds_read_b32 v95, v21 offset:6592                           // 000000005924: D86C19C0 5F000015
	ds_read_b32 v98, v21 offset:8704                           // 00000000592C: D86C2200 62000015
	ds_read_b32 v99, v21 offset:8768                           // 000000005934: D86C2240 63000015
	s_waitcnt lgkmcnt(0)                                       // 00000000593C: BF8CC07F
	v_mov_b32_e32 v7, 0                                        // 000000005940: 7E0E0280
	s_mov_b64 exec, s[36:37]                                   // 000000005944: BEFE0124
	v_mov_b32_e32 v6, v48                                      // 000000005948: 7E0C0330
	s_mov_b64 s[60:61], 0                                      // 00000000594C: BEBC0180
	v_readlane_b32 s82, v3, 0                                  // 000000005950: D2890052 00010103
	s_and_b32 s82, s82, 0xffffff                               // 000000005958: 8652FF52 00FFFFFF
	s_cmp_lt_u32 s82, s66                                      // 000000005960: BF0A4252
	s_cselect_b32 s20, s36, s60                                // 000000005964: 85143C24
	v_readlane_b32 s82, v3, 1                                  // 000000005968: D2890052 00010303
	s_and_b32 s82, s82, 0xffffff                               // 000000005970: 8652FF52 00FFFFFF
	s_cmp_lt_u32 s82, s66                                      // 000000005978: BF0A4252
	s_cselect_b32 s21, s36, s60                                // 00000000597C: 85153C24
	s_mov_b64 exec, s[20:21]                                   // 000000005980: BEFE0114
	global_atomic_add_f32 v6, v82, s[8:9] offset:8             // 000000005984: DD348008 00085206
	s_mov_b64 exec, s[36:37]                                   // 00000000598C: BEFE0124
	v_mov_b32_e32 v6, v49                                      // 000000005990: 7E0C0331
	s_mov_b64 s[60:61], 0                                      // 000000005994: BEBC0180
	v_readlane_b32 s82, v3, 2                                  // 000000005998: D2890052 00010503
	s_and_b32 s82, s82, 0xffffff                               // 0000000059A0: 8652FF52 00FFFFFF
	s_cmp_lt_u32 s82, s66                                      // 0000000059A8: BF0A4252
	s_cselect_b32 s20, s36, s60                                // 0000000059AC: 85143C24
	v_readlane_b32 s82, v3, 3                                  // 0000000059B0: D2890052 00010703
	s_and_b32 s82, s82, 0xffffff                               // 0000000059B8: 8652FF52 00FFFFFF
	s_cmp_lt_u32 s82, s66                                      // 0000000059C0: BF0A4252
	s_cselect_b32 s21, s36, s60                                // 0000000059C4: 85153C24
	s_mov_b64 exec, s[20:21]                                   // 0000000059C8: BEFE0114
	global_atomic_add_f32 v6, v83, s[8:9] offset:8             // 0000000059CC: DD348008 00085306
	s_mov_b64 exec, s[36:37]                                   // 0000000059D4: BEFE0124
	v_mov_b32_e32 v6, v50                                      // 0000000059D8: 7E0C0332
	s_mov_b64 s[60:61], 0                                      // 0000000059DC: BEBC0180
	v_readlane_b32 s82, v3, 4                                  // 0000000059E0: D2890052 00010903
	s_and_b32 s82, s82, 0xffffff                               // 0000000059E8: 8652FF52 00FFFFFF
	s_cmp_lt_u32 s82, s66                                      // 0000000059F0: BF0A4252
	s_cselect_b32 s20, s36, s60                                // 0000000059F4: 85143C24
	v_readlane_b32 s82, v3, 5                                  // 0000000059F8: D2890052 00010B03
	s_and_b32 s82, s82, 0xffffff                               // 000000005A00: 8652FF52 00FFFFFF
	s_cmp_lt_u32 s82, s66                                      // 000000005A08: BF0A4252
	s_cselect_b32 s21, s36, s60                                // 000000005A0C: 85153C24
	s_mov_b64 exec, s[20:21]                                   // 000000005A10: BEFE0114
	global_atomic_add_f32 v6, v86, s[8:9] offset:8             // 000000005A14: DD348008 00085606
	s_mov_b64 exec, s[36:37]                                   // 000000005A1C: BEFE0124
	v_mov_b32_e32 v6, v51                                      // 000000005A20: 7E0C0333
	s_mov_b64 s[60:61], 0                                      // 000000005A24: BEBC0180
	v_readlane_b32 s82, v3, 6                                  // 000000005A28: D2890052 00010D03
	s_and_b32 s82, s82, 0xffffff                               // 000000005A30: 8652FF52 00FFFFFF
	s_cmp_lt_u32 s82, s66                                      // 000000005A38: BF0A4252
	s_cselect_b32 s20, s36, s60                                // 000000005A3C: 85143C24
	v_readlane_b32 s82, v3, 7                                  // 000000005A40: D2890052 00010F03
	s_and_b32 s82, s82, 0xffffff                               // 000000005A48: 8652FF52 00FFFFFF
	s_cmp_lt_u32 s82, s66                                      // 000000005A50: BF0A4252
	s_cselect_b32 s21, s36, s60                                // 000000005A54: 85153C24
	s_mov_b64 exec, s[20:21]                                   // 000000005A58: BEFE0114
	global_atomic_add_f32 v6, v87, s[8:9] offset:8             // 000000005A5C: DD348008 00085706
	s_mov_b64 exec, s[36:37]                                   // 000000005A64: BEFE0124
	v_mov_b32_e32 v6, v52                                      // 000000005A68: 7E0C0334
	s_mov_b64 s[60:61], 0                                      // 000000005A6C: BEBC0180
	v_readlane_b32 s82, v3, 8                                  // 000000005A70: D2890052 00011103
	s_and_b32 s82, s82, 0xffffff                               // 000000005A78: 8652FF52 00FFFFFF
	s_cmp_lt_u32 s82, s66                                      // 000000005A80: BF0A4252
	s_cselect_b32 s20, s36, s60                                // 000000005A84: 85143C24
	v_readlane_b32 s82, v3, 9                                  // 000000005A88: D2890052 00011303
	s_and_b32 s82, s82, 0xffffff                               // 000000005A90: 8652FF52 00FFFFFF
	s_cmp_lt_u32 s82, s66                                      // 000000005A98: BF0A4252
	s_cselect_b32 s21, s36, s60                                // 000000005A9C: 85153C24
	s_mov_b64 exec, s[20:21]                                   // 000000005AA0: BEFE0114
	global_atomic_add_f32 v6, v90, s[8:9] offset:8             // 000000005AA4: DD348008 00085A06
	s_mov_b64 exec, s[36:37]                                   // 000000005AAC: BEFE0124
	v_mov_b32_e32 v6, v53                                      // 000000005AB0: 7E0C0335
	s_mov_b64 s[60:61], 0                                      // 000000005AB4: BEBC0180
	v_readlane_b32 s82, v3, 10                                 // 000000005AB8: D2890052 00011503
	s_and_b32 s82, s82, 0xffffff                               // 000000005AC0: 8652FF52 00FFFFFF
	s_cmp_lt_u32 s82, s66                                      // 000000005AC8: BF0A4252
	s_cselect_b32 s20, s36, s60                                // 000000005ACC: 85143C24
	v_readlane_b32 s82, v3, 11                                 // 000000005AD0: D2890052 00011703
	s_and_b32 s82, s82, 0xffffff                               // 000000005AD8: 8652FF52 00FFFFFF
	s_cmp_lt_u32 s82, s66                                      // 000000005AE0: BF0A4252
	s_cselect_b32 s21, s36, s60                                // 000000005AE4: 85153C24
	s_mov_b64 exec, s[20:21]                                   // 000000005AE8: BEFE0114
	global_atomic_add_f32 v6, v91, s[8:9] offset:8             // 000000005AEC: DD348008 00085B06
	s_mov_b64 exec, s[36:37]                                   // 000000005AF4: BEFE0124
	v_mov_b32_e32 v6, v54                                      // 000000005AF8: 7E0C0336
	s_mov_b64 s[60:61], 0                                      // 000000005AFC: BEBC0180
	v_readlane_b32 s82, v3, 12                                 // 000000005B00: D2890052 00011903
	s_and_b32 s82, s82, 0xffffff                               // 000000005B08: 8652FF52 00FFFFFF
	s_cmp_lt_u32 s82, s66                                      // 000000005B10: BF0A4252
	s_cselect_b32 s20, s36, s60                                // 000000005B14: 85143C24
	v_readlane_b32 s82, v3, 13                                 // 000000005B18: D2890052 00011B03
	s_and_b32 s82, s82, 0xffffff                               // 000000005B20: 8652FF52 00FFFFFF
	s_cmp_lt_u32 s82, s66                                      // 000000005B28: BF0A4252
	s_cselect_b32 s21, s36, s60                                // 000000005B2C: 85153C24
	s_mov_b64 exec, s[20:21]                                   // 000000005B30: BEFE0114
	global_atomic_add_f32 v6, v94, s[8:9] offset:8             // 000000005B34: DD348008 00085E06
	s_mov_b64 exec, s[36:37]                                   // 000000005B3C: BEFE0124
	v_mov_b32_e32 v6, v55                                      // 000000005B40: 7E0C0337
	s_mov_b64 s[60:61], 0                                      // 000000005B44: BEBC0180
	v_readlane_b32 s82, v3, 14                                 // 000000005B48: D2890052 00011D03
	s_and_b32 s82, s82, 0xffffff                               // 000000005B50: 8652FF52 00FFFFFF
	s_cmp_lt_u32 s82, s66                                      // 000000005B58: BF0A4252
	s_cselect_b32 s20, s36, s60                                // 000000005B5C: 85143C24
	v_readlane_b32 s82, v3, 15                                 // 000000005B60: D2890052 00011F03
	s_and_b32 s82, s82, 0xffffff                               // 000000005B68: 8652FF52 00FFFFFF
	s_cmp_lt_u32 s82, s66                                      // 000000005B70: BF0A4252
	s_cselect_b32 s21, s36, s60                                // 000000005B74: 85153C24
	s_mov_b64 exec, s[20:21]                                   // 000000005B78: BEFE0114
	global_atomic_add_f32 v6, v95, s[8:9] offset:8             // 000000005B7C: DD348008 00085F06
	s_mov_b64 exec, s[36:37]                                   // 000000005B84: BEFE0124
	v_mov_b32_e32 v6, v56                                      // 000000005B88: 7E0C0338
	s_mov_b64 s[60:61], 0                                      // 000000005B8C: BEBC0180
	v_readlane_b32 s82, v3, 16                                 // 000000005B90: D2890052 00012103
	s_and_b32 s82, s82, 0xffffff                               // 000000005B98: 8652FF52 00FFFFFF
	s_cmp_lt_u32 s82, s66                                      // 000000005BA0: BF0A4252
	s_cselect_b32 s20, s36, s60                                // 000000005BA4: 85143C24
	v_readlane_b32 s82, v3, 17                                 // 000000005BA8: D2890052 00012303
	s_and_b32 s82, s82, 0xffffff                               // 000000005BB0: 8652FF52 00FFFFFF
	s_cmp_lt_u32 s82, s66                                      // 000000005BB8: BF0A4252
	s_cselect_b32 s21, s36, s60                                // 000000005BBC: 85153C24
	s_mov_b64 exec, s[20:21]                                   // 000000005BC0: BEFE0114
	global_atomic_add_f32 v6, v98, s[8:9] offset:8             // 000000005BC4: DD348008 00086206
	s_mov_b64 exec, s[36:37]                                   // 000000005BCC: BEFE0124
	v_mov_b32_e32 v6, v57                                      // 000000005BD0: 7E0C0339
	s_mov_b64 s[60:61], 0                                      // 000000005BD4: BEBC0180
	v_readlane_b32 s82, v3, 18                                 // 000000005BD8: D2890052 00012503
	s_and_b32 s82, s82, 0xffffff                               // 000000005BE0: 8652FF52 00FFFFFF
	s_cmp_lt_u32 s82, s66                                      // 000000005BE8: BF0A4252
	s_cselect_b32 s20, s36, s60                                // 000000005BEC: 85143C24
	v_readlane_b32 s82, v3, 19                                 // 000000005BF0: D2890052 00012703
	s_and_b32 s82, s82, 0xffffff                               // 000000005BF8: 8652FF52 00FFFFFF
	s_cmp_lt_u32 s82, s66                                      // 000000005C00: BF0A4252
	s_cselect_b32 s21, s36, s60                                // 000000005C04: 85153C24
	s_mov_b64 exec, s[20:21]                                   // 000000005C08: BEFE0114
	global_atomic_add_f32 v6, v99, s[8:9] offset:8             // 000000005C0C: DD348008 00086306
	s_mov_b64 exec, s[36:37]                                   // 000000005C14: BEFE0124
	s_branch label_167B                                        // 000000005C18: BF8209F1

0000000000005c1c <label_0C8A>:
	s_waitcnt vmcnt(0) lgkmcnt(0)                              // 000000005C1C: BF8C0070
	s_barrier                                                  // 000000005C20: BF8A0000
	v_mfma_f32_16x16x32_fp8_fp8 v[60:63], a[80:81], a[0:1], v[60:63]// 000000005C24: D3F3003C 1CF20150
	buffer_load_dwordx4 a[88:91], v58, s[84:87], 0 offen       // 000000005C2C: E05C1000 8095583A
	v_mfma_f32_16x16x32_fp8_fp8 v[60:63], a[82:83], a[2:3], v[60:63]// 000000005C34: D3F3003C 1CF20552
	v_mfma_f32_16x16x32_fp8_fp8 v[60:63], a[84:85], a[4:5], v[60:63]// 000000005C3C: D3F3003C 1CF20954
	v_mfma_f32_16x16x32_fp8_fp8 v[60:63], a[86:87], a[6:7], v[60:63]// 000000005C44: D3F3003C 1CF20D56
	v_mfma_f32_16x16x32_fp8_fp8 v[64:67], a[80:81], a[8:9], v[64:67]// 000000005C4C: D3F30040 1D021150
	buffer_load_dwordx4 a[92:95], v58, s[84:87], 0 offen offset:1024// 000000005C54: E05C1400 80955C3A
	buffer_load_dword v48, s[20:23], 0 offen lds               // 000000005C5C: E0511000 80050030
	s_add_u32 m0, 0x100, s48                                   // 000000005C64: 807C30FF 00000100
	v_mfma_f32_16x16x32_fp8_fp8 v[64:67], a[82:83], a[10:11], v[64:67]// 000000005C6C: D3F30040 1D021552
	v_mfma_f32_16x16x32_fp8_fp8 v[64:67], a[84:85], a[12:13], v[64:67]// 000000005C74: D3F30040 1D021954
	buffer_load_dword v49, s[20:23], 0 offen lds               // 000000005C7C: E0511000 80050031
	s_add_u32 m0, 0x200, s48                                   // 000000005C84: 807C30FF 00000200
	v_mfma_f32_16x16x32_fp8_fp8 v[64:67], a[86:87], a[14:15], v[64:67]// 000000005C8C: D3F30040 1D021D56
	v_mfma_f32_16x16x32_fp8_fp8 v[68:71], a[80:81], a[16:17], v[68:71]// 000000005C94: D3F30044 1D122150
	buffer_load_dword v50, s[20:23], 0 offen lds               // 000000005C9C: E0511000 80050032
	s_add_u32 m0, 0x300, s48                                   // 000000005CA4: 807C30FF 00000300
	v_mfma_f32_16x16x32_fp8_fp8 v[68:71], a[82:83], a[18:19], v[68:71]// 000000005CAC: D3F30044 1D122552
	v_mfma_f32_16x16x32_fp8_fp8 v[68:71], a[84:85], a[20:21], v[68:71]// 000000005CB4: D3F30044 1D122954
	buffer_load_dword v51, s[20:23], 0 offen lds               // 000000005CBC: E0511000 80050033
	s_add_u32 m0, 0x400, s48                                   // 000000005CC4: 807C30FF 00000400
	v_mfma_f32_16x16x32_fp8_fp8 v[68:71], a[86:87], a[22:23], v[68:71]// 000000005CCC: D3F30044 1D122D56
	v_mfma_f32_16x16x32_fp8_fp8 v[72:75], a[80:81], a[24:25], v[72:75]// 000000005CD4: D3F30048 1D223150
	buffer_load_dword v52, s[20:23], 0 offen lds               // 000000005CDC: E0511000 80050034
	s_add_u32 m0, 0x500, s48                                   // 000000005CE4: 807C30FF 00000500
	v_mfma_f32_16x16x32_fp8_fp8 v[72:75], a[82:83], a[26:27], v[72:75]// 000000005CEC: D3F30048 1D223552
	v_mfma_f32_16x16x32_fp8_fp8 v[72:75], a[84:85], a[28:29], v[72:75]// 000000005CF4: D3F30048 1D223954
	buffer_load_dword v53, s[20:23], 0 offen lds               // 000000005CFC: E0511000 80050035
	s_add_u32 m0, 0x600, s48                                   // 000000005D04: 807C30FF 00000600
	v_mfma_f32_16x16x32_fp8_fp8 v[72:75], a[86:87], a[30:31], v[72:75]// 000000005D0C: D3F30048 1D223D56
	v_mfma_f32_16x16x32_fp8_fp8 v[76:79], a[80:81], a[32:33], v[76:79]// 000000005D14: D3F3004C 1D324150
	buffer_load_dword v54, s[20:23], 0 offen lds               // 000000005D1C: E0511000 80050036
	s_add_u32 m0, 0x700, s48                                   // 000000005D24: 807C30FF 00000700
	v_mfma_f32_16x16x32_fp8_fp8 v[76:79], a[82:83], a[34:35], v[76:79]// 000000005D2C: D3F3004C 1D324552
	s_add_u32 s60, 0x80, s80                                   // 000000005D34: 803C50FF 00000080
	s_cmp_lt_u32 s60, s81                                      // 000000005D3C: BF0A513C
	s_cselect_b32 s83, s83, 0                                  // 000000005D40: 85538053
	v_mfma_f32_16x16x32_fp8_fp8 v[76:79], a[84:85], a[36:37], v[76:79]// 000000005D44: D3F3004C 1D324954
	buffer_load_dword v55, s[20:23], 0 offen lds               // 000000005D4C: E0511000 80050037
	s_add_u32 m0, 0x800, s48                                   // 000000005D54: 807C30FF 00000800
	v_mfma_f32_16x16x32_fp8_fp8 v[76:79], a[86:87], a[38:39], v[76:79]// 000000005D5C: D3F3004C 1D324D56
	buffer_load_dword v56, s[20:23], 0 offen lds               // 000000005D64: E0511000 80050038
	s_add_u32 m0, 0x900, s48                                   // 000000005D6C: 807C30FF 00000900
	buffer_load_dword v57, s[20:23], 0 offen lds               // 000000005D74: E0511000 80050039
	s_add_u32 m0, 0, s49                                       // 000000005D7C: 807C3180
	s_waitcnt vmcnt(10)                                        // 000000005D80: BF8C0F7A
	v_mfma_f32_16x16x32_fp8_fp8 v[80:83], a[88:89], a[0:1], v[80:83]// 000000005D84: D3F30050 1D420158
	buffer_load_dwordx4 a[80:83], v58, s[24:27], 0 offen       // 000000005D8C: E05C1000 8086503A
	v_mfma_f32_16x16x32_fp8_fp8 v[80:83], a[90:91], a[2:3], v[80:83]// 000000005D94: D3F30050 1D42055A
	v_mfma_f32_16x16x32_fp8_fp8 v[80:83], a[92:93], a[4:5], v[80:83]// 000000005D9C: D3F30050 1D42095C
	ds_read_b128 a[40:43], v2 offset:10368                     // 000000005DA4: DBFE2880 28000002
	ds_read_b128 a[44:47], v2 offset:10432                     // 000000005DAC: DBFE28C0 2C000002
	v_mfma_f32_16x16x32_fp8_fp8 v[80:83], a[94:95], a[6:7], v[80:83]// 000000005DB4: D3F30050 1D420D5E
	v_mfma_f32_16x16x32_fp8_fp8 v[84:87], a[88:89], a[8:9], v[84:87]// 000000005DBC: D3F30054 1D521158
	buffer_load_dwordx4 a[84:87], v58, s[24:27], 0 offen offset:1024// 000000005DC4: E05C1400 8086543A
	v_mfma_f32_16x16x32_fp8_fp8 v[84:87], a[90:91], a[10:11], v[84:87]// 000000005DCC: D3F30054 1D52155A
	v_mfma_f32_16x16x32_fp8_fp8 v[84:87], a[92:93], a[12:13], v[84:87]// 000000005DD4: D3F30054 1D52195C
	ds_read_b128 a[48:51], v2 offset:10880                     // 000000005DDC: DBFE2A80 30000002
	ds_read_b128 a[52:55], v2 offset:10944                     // 000000005DE4: DBFE2AC0 34000002
	v_mfma_f32_16x16x32_fp8_fp8 v[84:87], a[94:95], a[14:15], v[84:87]// 000000005DEC: D3F30054 1D521D5E
	v_mfma_f32_16x16x32_fp8_fp8 v[88:91], a[88:89], a[16:17], v[88:91]// 000000005DF4: D3F30058 1D622158
	v_mfma_f32_16x16x32_fp8_fp8 v[88:91], a[90:91], a[18:19], v[88:91]// 000000005DFC: D3F30058 1D62255A
	v_mfma_f32_16x16x32_fp8_fp8 v[88:91], a[92:93], a[20:21], v[88:91]// 000000005E04: D3F30058 1D62295C
	ds_read_b128 a[56:59], v2 offset:11392                     // 000000005E0C: DBFE2C80 38000002
	ds_read_b128 a[60:63], v2 offset:11456                     // 000000005E14: DBFE2CC0 3C000002
	v_mfma_f32_16x16x32_fp8_fp8 v[88:91], a[94:95], a[22:23], v[88:91]// 000000005E1C: D3F30058 1D622D5E
	v_mfma_f32_16x16x32_fp8_fp8 v[92:95], a[88:89], a[24:25], v[92:95]// 000000005E24: D3F3005C 1D723158
	v_mfma_f32_16x16x32_fp8_fp8 v[92:95], a[90:91], a[26:27], v[92:95]// 000000005E2C: D3F3005C 1D72355A
	v_mfma_f32_16x16x32_fp8_fp8 v[92:95], a[92:93], a[28:29], v[92:95]// 000000005E34: D3F3005C 1D72395C
	ds_read_b128 a[64:67], v2 offset:11904                     // 000000005E3C: DBFE2E80 40000002
	ds_read_b128 a[68:71], v2 offset:11968                     // 000000005E44: DBFE2EC0 44000002
	s_add_u32 s60, 0x180, s80                                  // 000000005E4C: 803C50FF 00000180
	s_cmp_lt_u32 s60, s81                                      // 000000005E54: BF0A513C
	s_cselect_b32 s57, s57, 0                                  // 000000005E58: 85398039
	v_mfma_f32_16x16x32_fp8_fp8 v[92:95], a[94:95], a[30:31], v[92:95]// 000000005E5C: D3F3005C 1D723D5E
	s_add_u32 s60, 0x100, s80                                  // 000000005E64: 803C50FF 00000100
	s_cmp_lt_u32 s60, s81                                      // 000000005E6C: BF0A513C
	s_cselect_b32 s58, s58, 0                                  // 000000005E70: 853A803A
	v_mfma_f32_16x16x32_fp8_fp8 v[96:99], a[88:89], a[32:33], v[96:99]// 000000005E74: D3F30060 1D824158
	s_add_u32 s24, s58, s24                                    // 000000005E7C: 8018183A
	s_addc_u32 s25, 0, s25                                     // 000000005E80: 82191980
	v_mfma_f32_16x16x32_fp8_fp8 v[96:99], a[90:91], a[34:35], v[96:99]// 000000005E84: D3F30060 1D82455A
	s_add_u32 s20, s57, s20                                    // 000000005E8C: 80141439
	s_addc_u32 s21, 0, s21                                     // 000000005E90: 82151580
	v_mfma_f32_16x16x32_fp8_fp8 v[96:99], a[92:93], a[36:37], v[96:99]// 000000005E94: D3F30060 1D82495C
	ds_read_b128 a[72:75], v2 offset:12416                     // 000000005E9C: DBFE3080 48000002
	ds_read_b128 a[76:79], v2 offset:12480                     // 000000005EA4: DBFE30C0 4C000002
	s_add_u32 s84, s83, s84                                    // 000000005EAC: 80545453
	s_addc_u32 s85, 0, s85                                     // 000000005EB0: 82555580
	v_mfma_f32_16x16x32_fp8_fp8 v[96:99], a[94:95], a[38:39], v[96:99]// 000000005EB4: D3F30060 1D824D5E
	s_addk_i32 s80, 0x80                                       // 000000005EBC: B7500080
	s_cmp_lt_i32 s80, s81                                      // 000000005EC0: BF045150
	s_cbranch_scc0 label_0DE1                                  // 000000005EC4: BF8400AC
	s_waitcnt vmcnt(0) lgkmcnt(0)                              // 000000005EC8: BF8C0070
	s_barrier                                                  // 000000005ECC: BF8A0000
	v_mfma_f32_16x16x32_fp8_fp8 v[60:63], a[80:81], a[40:41], v[60:63]// 000000005ED0: D3F3003C 1CF25150
	buffer_load_dwordx4 a[88:91], v58, s[84:87], 0 offen       // 000000005ED8: E05C1000 8095583A
	v_mfma_f32_16x16x32_fp8_fp8 v[60:63], a[82:83], a[42:43], v[60:63]// 000000005EE0: D3F3003C 1CF25552
	v_mfma_f32_16x16x32_fp8_fp8 v[60:63], a[84:85], a[44:45], v[60:63]// 000000005EE8: D3F3003C 1CF25954
	v_mfma_f32_16x16x32_fp8_fp8 v[60:63], a[86:87], a[46:47], v[60:63]// 000000005EF0: D3F3003C 1CF25D56
	v_mfma_f32_16x16x32_fp8_fp8 v[64:67], a[80:81], a[48:49], v[64:67]// 000000005EF8: D3F30040 1D026150
	buffer_load_dwordx4 a[92:95], v58, s[84:87], 0 offen offset:1024// 000000005F00: E05C1400 80955C3A
	buffer_load_dword v48, s[20:23], 0 offen lds               // 000000005F08: E0511000 80050030
	s_add_u32 m0, 0x100, s49                                   // 000000005F10: 807C31FF 00000100
	v_mfma_f32_16x16x32_fp8_fp8 v[64:67], a[82:83], a[50:51], v[64:67]// 000000005F18: D3F30040 1D026552
	v_mfma_f32_16x16x32_fp8_fp8 v[64:67], a[84:85], a[52:53], v[64:67]// 000000005F20: D3F30040 1D026954
	buffer_load_dword v49, s[20:23], 0 offen lds               // 000000005F28: E0511000 80050031
	s_add_u32 m0, 0x200, s49                                   // 000000005F30: 807C31FF 00000200
	v_mfma_f32_16x16x32_fp8_fp8 v[64:67], a[86:87], a[54:55], v[64:67]// 000000005F38: D3F30040 1D026D56
	v_mfma_f32_16x16x32_fp8_fp8 v[68:71], a[80:81], a[56:57], v[68:71]// 000000005F40: D3F30044 1D127150
	buffer_load_dword v50, s[20:23], 0 offen lds               // 000000005F48: E0511000 80050032
	s_add_u32 m0, 0x300, s49                                   // 000000005F50: 807C31FF 00000300
	v_mfma_f32_16x16x32_fp8_fp8 v[68:71], a[82:83], a[58:59], v[68:71]// 000000005F58: D3F30044 1D127552
	v_mfma_f32_16x16x32_fp8_fp8 v[68:71], a[84:85], a[60:61], v[68:71]// 000000005F60: D3F30044 1D127954
	buffer_load_dword v51, s[20:23], 0 offen lds               // 000000005F68: E0511000 80050033
	s_add_u32 m0, 0x400, s49                                   // 000000005F70: 807C31FF 00000400
	v_mfma_f32_16x16x32_fp8_fp8 v[68:71], a[86:87], a[62:63], v[68:71]// 000000005F78: D3F30044 1D127D56
	v_mfma_f32_16x16x32_fp8_fp8 v[72:75], a[80:81], a[64:65], v[72:75]// 000000005F80: D3F30048 1D228150
	buffer_load_dword v52, s[20:23], 0 offen lds               // 000000005F88: E0511000 80050034
	s_add_u32 m0, 0x500, s49                                   // 000000005F90: 807C31FF 00000500
	v_mfma_f32_16x16x32_fp8_fp8 v[72:75], a[82:83], a[66:67], v[72:75]// 000000005F98: D3F30048 1D228552
	v_mfma_f32_16x16x32_fp8_fp8 v[72:75], a[84:85], a[68:69], v[72:75]// 000000005FA0: D3F30048 1D228954
	buffer_load_dword v53, s[20:23], 0 offen lds               // 000000005FA8: E0511000 80050035
	s_add_u32 m0, 0x600, s49                                   // 000000005FB0: 807C31FF 00000600
	v_mfma_f32_16x16x32_fp8_fp8 v[72:75], a[86:87], a[70:71], v[72:75]// 000000005FB8: D3F30048 1D228D56
	v_mfma_f32_16x16x32_fp8_fp8 v[76:79], a[80:81], a[72:73], v[76:79]// 000000005FC0: D3F3004C 1D329150
	buffer_load_dword v54, s[20:23], 0 offen lds               // 000000005FC8: E0511000 80050036
	s_add_u32 m0, 0x700, s49                                   // 000000005FD0: 807C31FF 00000700
	v_mfma_f32_16x16x32_fp8_fp8 v[76:79], a[82:83], a[74:75], v[76:79]// 000000005FD8: D3F3004C 1D329552
	s_add_u32 s60, 0x80, s80                                   // 000000005FE0: 803C50FF 00000080
	s_cmp_lt_u32 s60, s81                                      // 000000005FE8: BF0A513C
	s_cselect_b32 s83, s83, 0                                  // 000000005FEC: 85538053
	v_mfma_f32_16x16x32_fp8_fp8 v[76:79], a[84:85], a[76:77], v[76:79]// 000000005FF0: D3F3004C 1D329954
	buffer_load_dword v55, s[20:23], 0 offen lds               // 000000005FF8: E0511000 80050037
	s_add_u32 m0, 0x800, s49                                   // 000000006000: 807C31FF 00000800
	v_mfma_f32_16x16x32_fp8_fp8 v[76:79], a[86:87], a[78:79], v[76:79]// 000000006008: D3F3004C 1D329D56
	buffer_load_dword v56, s[20:23], 0 offen lds               // 000000006010: E0511000 80050038
	s_add_u32 m0, 0x900, s49                                   // 000000006018: 807C31FF 00000900
	buffer_load_dword v57, s[20:23], 0 offen lds               // 000000006020: E0511000 80050039
	s_add_u32 m0, 0, s48                                       // 000000006028: 807C3080
	s_waitcnt vmcnt(10)                                        // 00000000602C: BF8C0F7A
	v_mfma_f32_16x16x32_fp8_fp8 v[80:83], a[88:89], a[40:41], v[80:83]// 000000006030: D3F30050 1D425158
	buffer_load_dwordx4 a[80:83], v58, s[24:27], 0 offen       // 000000006038: E05C1000 8086503A
	v_mfma_f32_16x16x32_fp8_fp8 v[80:83], a[90:91], a[42:43], v[80:83]// 000000006040: D3F30050 1D42555A
	v_mfma_f32_16x16x32_fp8_fp8 v[80:83], a[92:93], a[44:45], v[80:83]// 000000006048: D3F30050 1D42595C
	ds_read_b128 a[0:3], v2                                    // 000000006050: DBFE0000 00000002
	ds_read_b128 a[4:7], v2 offset:64                          // 000000006058: DBFE0040 04000002
	v_mfma_f32_16x16x32_fp8_fp8 v[80:83], a[94:95], a[46:47], v[80:83]// 000000006060: D3F30050 1D425D5E
	v_mfma_f32_16x16x32_fp8_fp8 v[84:87], a[88:89], a[48:49], v[84:87]// 000000006068: D3F30054 1D526158
	buffer_load_dwordx4 a[84:87], v58, s[24:27], 0 offen offset:1024// 000000006070: E05C1400 8086543A
	v_mfma_f32_16x16x32_fp8_fp8 v[84:87], a[90:91], a[50:51], v[84:87]// 000000006078: D3F30054 1D52655A
	v_mfma_f32_16x16x32_fp8_fp8 v[84:87], a[92:93], a[52:53], v[84:87]// 000000006080: D3F30054 1D52695C
	ds_read_b128 a[8:11], v2 offset:512                        // 000000006088: DBFE0200 08000002
	ds_read_b128 a[12:15], v2 offset:576                       // 000000006090: DBFE0240 0C000002
	v_mfma_f32_16x16x32_fp8_fp8 v[84:87], a[94:95], a[54:55], v[84:87]// 000000006098: D3F30054 1D526D5E
	v_mfma_f32_16x16x32_fp8_fp8 v[88:91], a[88:89], a[56:57], v[88:91]// 0000000060A0: D3F30058 1D627158
	v_mfma_f32_16x16x32_fp8_fp8 v[88:91], a[90:91], a[58:59], v[88:91]// 0000000060A8: D3F30058 1D62755A
	v_mfma_f32_16x16x32_fp8_fp8 v[88:91], a[92:93], a[60:61], v[88:91]// 0000000060B0: D3F30058 1D62795C
	ds_read_b128 a[16:19], v2 offset:1024                      // 0000000060B8: DBFE0400 10000002
	ds_read_b128 a[20:23], v2 offset:1088                      // 0000000060C0: DBFE0440 14000002
	v_mfma_f32_16x16x32_fp8_fp8 v[88:91], a[94:95], a[62:63], v[88:91]// 0000000060C8: D3F30058 1D627D5E
	v_mfma_f32_16x16x32_fp8_fp8 v[92:95], a[88:89], a[64:65], v[92:95]// 0000000060D0: D3F3005C 1D728158
	v_mfma_f32_16x16x32_fp8_fp8 v[92:95], a[90:91], a[66:67], v[92:95]// 0000000060D8: D3F3005C 1D72855A
	v_mfma_f32_16x16x32_fp8_fp8 v[92:95], a[92:93], a[68:69], v[92:95]// 0000000060E0: D3F3005C 1D72895C
	ds_read_b128 a[24:27], v2 offset:1536                      // 0000000060E8: DBFE0600 18000002
	ds_read_b128 a[28:31], v2 offset:1600                      // 0000000060F0: DBFE0640 1C000002
	s_add_u32 s60, 0x180, s80                                  // 0000000060F8: 803C50FF 00000180
	s_cmp_lt_u32 s60, s81                                      // 000000006100: BF0A513C
	s_cselect_b32 s57, s57, 0                                  // 000000006104: 85398039
	v_mfma_f32_16x16x32_fp8_fp8 v[92:95], a[94:95], a[70:71], v[92:95]// 000000006108: D3F3005C 1D728D5E
	s_add_u32 s60, 0x100, s80                                  // 000000006110: 803C50FF 00000100
	s_cmp_lt_u32 s60, s81                                      // 000000006118: BF0A513C
	s_cselect_b32 s58, s58, 0                                  // 00000000611C: 853A803A
	v_mfma_f32_16x16x32_fp8_fp8 v[96:99], a[88:89], a[72:73], v[96:99]// 000000006120: D3F30060 1D829158
	s_add_u32 s24, s58, s24                                    // 000000006128: 8018183A
	s_addc_u32 s25, 0, s25                                     // 00000000612C: 82191980
	v_mfma_f32_16x16x32_fp8_fp8 v[96:99], a[90:91], a[74:75], v[96:99]// 000000006130: D3F30060 1D82955A
	s_add_u32 s20, s57, s20                                    // 000000006138: 80141439
	s_addc_u32 s21, 0, s21                                     // 00000000613C: 82151580
	v_mfma_f32_16x16x32_fp8_fp8 v[96:99], a[92:93], a[76:77], v[96:99]// 000000006140: D3F30060 1D82995C
	ds_read_b128 a[32:35], v2 offset:2048                      // 000000006148: DBFE0800 20000002
	ds_read_b128 a[36:39], v2 offset:2112                      // 000000006150: DBFE0840 24000002
	s_add_u32 s84, s83, s84                                    // 000000006158: 80545453
	s_addc_u32 s85, 0, s85                                     // 00000000615C: 82555580
	v_mfma_f32_16x16x32_fp8_fp8 v[96:99], a[94:95], a[78:79], v[96:99]// 000000006160: D3F30060 1D829D5E
	s_addk_i32 s80, 0x80                                       // 000000006168: B7500080
	s_cmp_lt_i32 s80, s81                                      // 00000000616C: BF045150
	s_cbranch_scc0 label_0DE1                                  // 000000006170: BF840001
	s_branch label_0C8A                                        // 000000006174: BF82FEA9

0000000000006178 <label_0DE1>:
	v_mul_f32_dpp v60, v24, v60 row_newbcast:0 row_mask:0xf bank_mask:0xf// 000000006178: 0A7878FA FF015018
	v_mul_f32_dpp v61, v24, v61 row_newbcast:1 row_mask:0xf bank_mask:0xf// 000000006180: 0A7A7AFA FF015118
	v_mul_f32_dpp v62, v24, v62 row_newbcast:2 row_mask:0xf bank_mask:0xf// 000000006188: 0A7C7CFA FF015218
	v_mul_f32_dpp v63, v24, v63 row_newbcast:3 row_mask:0xf bank_mask:0xf// 000000006190: 0A7E7EFA FF015318
	v_mul_f32_dpp v64, v24, v64 row_newbcast:0 row_mask:0xf bank_mask:0xf// 000000006198: 0A8080FA FF015018
	v_mul_f32_dpp v65, v24, v65 row_newbcast:1 row_mask:0xf bank_mask:0xf// 0000000061A0: 0A8282FA FF015118
	v_mul_f32_dpp v66, v24, v66 row_newbcast:2 row_mask:0xf bank_mask:0xf// 0000000061A8: 0A8484FA FF015218
	v_mul_f32_dpp v67, v24, v67 row_newbcast:3 row_mask:0xf bank_mask:0xf// 0000000061B0: 0A8686FA FF015318
	v_mul_f32_dpp v68, v24, v68 row_newbcast:0 row_mask:0xf bank_mask:0xf// 0000000061B8: 0A8888FA FF015018
	v_mul_f32_dpp v69, v24, v69 row_newbcast:1 row_mask:0xf bank_mask:0xf// 0000000061C0: 0A8A8AFA FF015118
	v_mul_f32_dpp v70, v24, v70 row_newbcast:2 row_mask:0xf bank_mask:0xf// 0000000061C8: 0A8C8CFA FF015218
	v_mul_f32_dpp v71, v24, v71 row_newbcast:3 row_mask:0xf bank_mask:0xf// 0000000061D0: 0A8E8EFA FF015318
	v_mul_f32_dpp v72, v24, v72 row_newbcast:0 row_mask:0xf bank_mask:0xf// 0000000061D8: 0A9090FA FF015018
	v_mul_f32_dpp v73, v24, v73 row_newbcast:1 row_mask:0xf bank_mask:0xf// 0000000061E0: 0A9292FA FF015118
	v_mul_f32_dpp v74, v24, v74 row_newbcast:2 row_mask:0xf bank_mask:0xf// 0000000061E8: 0A9494FA FF015218
	v_mul_f32_dpp v75, v24, v75 row_newbcast:3 row_mask:0xf bank_mask:0xf// 0000000061F0: 0A9696FA FF015318
	v_mul_f32_dpp v76, v24, v76 row_newbcast:0 row_mask:0xf bank_mask:0xf// 0000000061F8: 0A9898FA FF015018
	v_mul_f32_dpp v77, v24, v77 row_newbcast:1 row_mask:0xf bank_mask:0xf// 000000006200: 0A9A9AFA FF015118
	v_mul_f32_dpp v78, v24, v78 row_newbcast:2 row_mask:0xf bank_mask:0xf// 000000006208: 0A9C9CFA FF015218
	v_mul_f32_dpp v79, v24, v79 row_newbcast:3 row_mask:0xf bank_mask:0xf// 000000006210: 0A9E9EFA FF015318
	v_mul_f32_dpp v80, v26, v80 row_newbcast:0 row_mask:0xf bank_mask:0xf// 000000006218: 0AA0A0FA FF01501A
	v_mul_f32_dpp v81, v26, v81 row_newbcast:1 row_mask:0xf bank_mask:0xf// 000000006220: 0AA2A2FA FF01511A
	v_mul_f32_dpp v82, v26, v82 row_newbcast:2 row_mask:0xf bank_mask:0xf// 000000006228: 0AA4A4FA FF01521A
	v_mul_f32_dpp v83, v26, v83 row_newbcast:3 row_mask:0xf bank_mask:0xf// 000000006230: 0AA6A6FA FF01531A
	v_mul_f32_dpp v84, v26, v84 row_newbcast:0 row_mask:0xf bank_mask:0xf// 000000006238: 0AA8A8FA FF01501A
	v_mul_f32_dpp v85, v26, v85 row_newbcast:1 row_mask:0xf bank_mask:0xf// 000000006240: 0AAAAAFA FF01511A
	v_mul_f32_dpp v86, v26, v86 row_newbcast:2 row_mask:0xf bank_mask:0xf// 000000006248: 0AACACFA FF01521A
	v_mul_f32_dpp v87, v26, v87 row_newbcast:3 row_mask:0xf bank_mask:0xf// 000000006250: 0AAEAEFA FF01531A
	v_mul_f32_dpp v88, v26, v88 row_newbcast:0 row_mask:0xf bank_mask:0xf// 000000006258: 0AB0B0FA FF01501A
	v_mul_f32_dpp v89, v26, v89 row_newbcast:1 row_mask:0xf bank_mask:0xf// 000000006260: 0AB2B2FA FF01511A
	v_mul_f32_dpp v90, v26, v90 row_newbcast:2 row_mask:0xf bank_mask:0xf// 000000006268: 0AB4B4FA FF01521A
	v_mul_f32_dpp v91, v26, v91 row_newbcast:3 row_mask:0xf bank_mask:0xf// 000000006270: 0AB6B6FA FF01531A
	v_mul_f32_dpp v92, v26, v92 row_newbcast:0 row_mask:0xf bank_mask:0xf// 000000006278: 0AB8B8FA FF01501A
	v_mul_f32_dpp v93, v26, v93 row_newbcast:1 row_mask:0xf bank_mask:0xf// 000000006280: 0ABABAFA FF01511A
	v_mul_f32_dpp v94, v26, v94 row_newbcast:2 row_mask:0xf bank_mask:0xf// 000000006288: 0ABCBCFA FF01521A
	v_mul_f32_dpp v95, v26, v95 row_newbcast:3 row_mask:0xf bank_mask:0xf// 000000006290: 0ABEBEFA FF01531A
	v_mul_f32_dpp v96, v26, v96 row_newbcast:0 row_mask:0xf bank_mask:0xf// 000000006298: 0AC0C0FA FF01501A
	v_mul_f32_dpp v97, v26, v97 row_newbcast:1 row_mask:0xf bank_mask:0xf// 0000000062A0: 0AC2C2FA FF01511A
	v_mul_f32_dpp v98, v26, v98 row_newbcast:2 row_mask:0xf bank_mask:0xf// 0000000062A8: 0AC4C4FA FF01521A
	v_mul_f32_dpp v99, v26, v99 row_newbcast:3 row_mask:0xf bank_mask:0xf// 0000000062B0: 0AC6C6FA FF01531A
	v_mul_f32_e32 v33, v33, v100                               // 0000000062B8: 0A42C921
	v_mov_b32_e32 v4, v33                                      // 0000000062BC: 7E080321
	v_mov_b32_e32 v5, v4                                       // 0000000062C0: 7E0A0304
	v_pk_mul_f32 v[60:61], v[4:5], v[60:61]                    // 0000000062C4: D3B1403C 18027904
	v_pk_mul_f32 v[80:81], v[4:5], v[80:81]                    // 0000000062CC: D3B14050 1802A104
	v_pk_mul_f32 v[62:63], v[4:5], v[62:63]                    // 0000000062D4: D3B1403E 18027D04
	v_pk_mul_f32 v[82:83], v[4:5], v[82:83]                    // 0000000062DC: D3B14052 1802A504
	v_mul_f32_e32 v34, v34, v101                               // 0000000062E4: 0A44CB22
	v_mov_b32_e32 v4, v34                                      // 0000000062E8: 7E080322
	v_mov_b32_e32 v5, v4                                       // 0000000062EC: 7E0A0304
	v_pk_mul_f32 v[64:65], v[4:5], v[64:65]                    // 0000000062F0: D3B14040 18028104
	v_pk_mul_f32 v[84:85], v[4:5], v[84:85]                    // 0000000062F8: D3B14054 1802A904
	v_pk_mul_f32 v[66:67], v[4:5], v[66:67]                    // 000000006300: D3B14042 18028504
	v_pk_mul_f32 v[86:87], v[4:5], v[86:87]                    // 000000006308: D3B14056 1802AD04
	v_mul_f32_e32 v35, v35, v102                               // 000000006310: 0A46CD23
	v_mov_b32_e32 v4, v35                                      // 000000006314: 7E080323
	v_mov_b32_e32 v5, v4                                       // 000000006318: 7E0A0304
	v_pk_mul_f32 v[68:69], v[4:5], v[68:69]                    // 00000000631C: D3B14044 18028904
	v_pk_mul_f32 v[88:89], v[4:5], v[88:89]                    // 000000006324: D3B14058 1802B104
	v_pk_mul_f32 v[70:71], v[4:5], v[70:71]                    // 00000000632C: D3B14046 18028D04
	v_pk_mul_f32 v[90:91], v[4:5], v[90:91]                    // 000000006334: D3B1405A 1802B504
	v_mul_f32_e32 v36, v36, v103                               // 00000000633C: 0A48CF24
	v_mov_b32_e32 v4, v36                                      // 000000006340: 7E080324
	v_mov_b32_e32 v5, v4                                       // 000000006344: 7E0A0304
	v_pk_mul_f32 v[72:73], v[4:5], v[72:73]                    // 000000006348: D3B14048 18029104
	v_pk_mul_f32 v[92:93], v[4:5], v[92:93]                    // 000000006350: D3B1405C 1802B904
	v_pk_mul_f32 v[74:75], v[4:5], v[74:75]                    // 000000006358: D3B1404A 18029504
	v_pk_mul_f32 v[94:95], v[4:5], v[94:95]                    // 000000006360: D3B1405E 1802BD04
	v_mul_f32_e32 v37, v37, v104                               // 000000006368: 0A4AD125
	v_mov_b32_e32 v4, v37                                      // 00000000636C: 7E080325
	v_mov_b32_e32 v5, v4                                       // 000000006370: 7E0A0304
	v_pk_mul_f32 v[76:77], v[4:5], v[76:77]                    // 000000006374: D3B1404C 18029904
	v_pk_mul_f32 v[96:97], v[4:5], v[96:97]                    // 00000000637C: D3B14060 1802C104
	v_pk_mul_f32 v[78:79], v[4:5], v[78:79]                    // 000000006384: D3B1404E 18029D04
	v_pk_mul_f32 v[98:99], v[4:5], v[98:99]                    // 00000000638C: D3B14062 1802C504
	s_cmp_eq_u32 s88, 0                                        // 000000006394: BF068058
	s_cbranch_scc0 label_122D                                  // 000000006398: BF8403C3
	s_cmp_eq_u32 s89, 0                                        // 00000000639C: BF068059
	s_cbranch_scc1 label_0F39                                  // 0000000063A0: BF8500CD
	v_mov_b32_e32 v8, v1                                       // 0000000063A4: 7E100301
	v_mov_b32_e32 v9, v1                                       // 0000000063A8: 7E120301
	s_mov_b32 s60, s6                                          // 0000000063AC: BEBC0006
	s_mov_b32 s61, s6                                          // 0000000063B0: BEBD0006
	v_pk_mul_f32 v[4:5], v[60:61], v[60:61]                    // 0000000063B4: D3B14004 1802793C
	v_pk_mul_f32 v[6:7], v[62:63], v[62:63]                    // 0000000063BC: D3B14006 18027D3E
	v_pk_fma_f32 v[4:5], v[4:5], s[78:79], v[8:9]              // 0000000063C4: D3B04004 1C209D04
	v_pk_fma_f32 v[6:7], v[6:7], s[78:79], v[8:9]              // 0000000063CC: D3B04006 1C209D06
	v_pk_mul_f32 v[4:5], v[4:5], v[60:61]                      // 0000000063D4: D3B14004 18027904
	v_pk_mul_f32 v[6:7], v[6:7], v[62:63]                      // 0000000063DC: D3B14006 18027D06
	v_pk_mul_f32 v[4:5], v[4:5], s[60:61]                      // 0000000063E4: D3B14004 18007904
	v_pk_mul_f32 v[6:7], v[6:7], s[60:61]                      // 0000000063EC: D3B14006 18007906
	v_exp_f32_e32 v4, v4                                       // 0000000063F4: 7E084104
	v_exp_f32_e32 v5, v5                                       // 0000000063F8: 7E0A4105
	v_exp_f32_e32 v6, v6                                       // 0000000063FC: 7E0C4106
	v_exp_f32_e32 v7, v7                                       // 000000006400: 7E0E4107
	v_add_f32_e64 v4, v4, 1.0                                  // 000000006404: D1010004 0001E504
	v_add_f32_e64 v5, v5, 1.0                                  // 00000000640C: D1010005 0001E505
	v_add_f32_e64 v6, v6, 1.0                                  // 000000006414: D1010006 0001E506
	v_add_f32_e64 v7, v7, 1.0                                  // 00000000641C: D1010007 0001E507
	v_rcp_f32_e32 v4, v4                                       // 000000006424: 7E084504
	v_rcp_f32_e32 v5, v5                                       // 000000006428: 7E0A4505
	v_rcp_f32_e32 v6, v6                                       // 00000000642C: 7E0C4506
	v_rcp_f32_e32 v7, v7                                       // 000000006430: 7E0E4507
	v_mul_f32_e32 v60, v60, v4                                 // 000000006434: 0A78093C
	v_mul_f32_e32 v61, v61, v5                                 // 000000006438: 0A7A0B3D
	v_mul_f32_e32 v62, v62, v6                                 // 00000000643C: 0A7C0D3E
	v_mul_f32_e32 v63, v63, v7                                 // 000000006440: 0A7E0F3F
	v_mul_f32_e32 v60, v60, v80                                // 000000006444: 0A78A13C
	v_mul_f32_e32 v61, v61, v81                                // 000000006448: 0A7AA33D
	v_mul_f32_e32 v62, v62, v82                                // 00000000644C: 0A7CA53E
	v_mul_f32_e32 v63, v63, v83                                // 000000006450: 0A7EA73F
	v_pk_mul_f32 v[4:5], v[64:65], v[64:65]                    // 000000006454: D3B14004 18028140
	v_pk_mul_f32 v[6:7], v[66:67], v[66:67]                    // 00000000645C: D3B14006 18028542
	v_pk_fma_f32 v[4:5], v[4:5], s[78:79], v[8:9]              // 000000006464: D3B04004 1C209D04
	v_pk_fma_f32 v[6:7], v[6:7], s[78:79], v[8:9]              // 00000000646C: D3B04006 1C209D06
	v_pk_mul_f32 v[4:5], v[4:5], v[64:65]                      // 000000006474: D3B14004 18028104
	v_pk_mul_f32 v[6:7], v[6:7], v[66:67]                      // 00000000647C: D3B14006 18028506
	v_pk_mul_f32 v[4:5], v[4:5], s[60:61]                      // 000000006484: D3B14004 18007904
	v_pk_mul_f32 v[6:7], v[6:7], s[60:61]                      // 00000000648C: D3B14006 18007906
	v_exp_f32_e32 v4, v4                                       // 000000006494: 7E084104
	v_exp_f32_e32 v5, v5                                       // 000000006498: 7E0A4105
	v_exp_f32_e32 v6, v6                                       // 00000000649C: 7E0C4106
	v_exp_f32_e32 v7, v7                                       // 0000000064A0: 7E0E4107
	v_add_f32_e64 v4, v4, 1.0                                  // 0000000064A4: D1010004 0001E504
	v_add_f32_e64 v5, v5, 1.0                                  // 0000000064AC: D1010005 0001E505
	v_add_f32_e64 v6, v6, 1.0                                  // 0000000064B4: D1010006 0001E506
	v_add_f32_e64 v7, v7, 1.0                                  // 0000000064BC: D1010007 0001E507
	v_rcp_f32_e32 v4, v4                                       // 0000000064C4: 7E084504
	v_rcp_f32_e32 v5, v5                                       // 0000000064C8: 7E0A4505
	v_rcp_f32_e32 v6, v6                                       // 0000000064CC: 7E0C4506
	v_rcp_f32_e32 v7, v7                                       // 0000000064D0: 7E0E4507
	v_mul_f32_e32 v64, v64, v4                                 // 0000000064D4: 0A800940
	v_mul_f32_e32 v65, v65, v5                                 // 0000000064D8: 0A820B41
	v_mul_f32_e32 v66, v66, v6                                 // 0000000064DC: 0A840D42
	v_mul_f32_e32 v67, v67, v7                                 // 0000000064E0: 0A860F43
	v_mul_f32_e32 v64, v64, v84                                // 0000000064E4: 0A80A940
	v_mul_f32_e32 v65, v65, v85                                // 0000000064E8: 0A82AB41
	v_mul_f32_e32 v66, v66, v86                                // 0000000064EC: 0A84AD42
	v_mul_f32_e32 v67, v67, v87                                // 0000000064F0: 0A86AF43
	v_pk_mul_f32 v[4:5], v[68:69], v[68:69]                    // 0000000064F4: D3B14004 18028944
	v_pk_mul_f32 v[6:7], v[70:71], v[70:71]                    // 0000000064FC: D3B14006 18028D46
	v_pk_fma_f32 v[4:5], v[4:5], s[78:79], v[8:9]              // 000000006504: D3B04004 1C209D04
	v_pk_fma_f32 v[6:7], v[6:7], s[78:79], v[8:9]              // 00000000650C: D3B04006 1C209D06
	v_pk_mul_f32 v[4:5], v[4:5], v[68:69]                      // 000000006514: D3B14004 18028904
	v_pk_mul_f32 v[6:7], v[6:7], v[70:71]                      // 00000000651C: D3B14006 18028D06
	v_pk_mul_f32 v[4:5], v[4:5], s[60:61]                      // 000000006524: D3B14004 18007904
	v_pk_mul_f32 v[6:7], v[6:7], s[60:61]                      // 00000000652C: D3B14006 18007906
	v_exp_f32_e32 v4, v4                                       // 000000006534: 7E084104
	v_exp_f32_e32 v5, v5                                       // 000000006538: 7E0A4105
	v_exp_f32_e32 v6, v6                                       // 00000000653C: 7E0C4106
	v_exp_f32_e32 v7, v7                                       // 000000006540: 7E0E4107
	v_add_f32_e64 v4, v4, 1.0                                  // 000000006544: D1010004 0001E504
	v_add_f32_e64 v5, v5, 1.0                                  // 00000000654C: D1010005 0001E505
	v_add_f32_e64 v6, v6, 1.0                                  // 000000006554: D1010006 0001E506
	v_add_f32_e64 v7, v7, 1.0                                  // 00000000655C: D1010007 0001E507
	v_rcp_f32_e32 v4, v4                                       // 000000006564: 7E084504
	v_rcp_f32_e32 v5, v5                                       // 000000006568: 7E0A4505
	v_rcp_f32_e32 v6, v6                                       // 00000000656C: 7E0C4506
	v_rcp_f32_e32 v7, v7                                       // 000000006570: 7E0E4507
	v_mul_f32_e32 v68, v68, v4                                 // 000000006574: 0A880944
	v_mul_f32_e32 v69, v69, v5                                 // 000000006578: 0A8A0B45
	v_mul_f32_e32 v70, v70, v6                                 // 00000000657C: 0A8C0D46
	v_mul_f32_e32 v71, v71, v7                                 // 000000006580: 0A8E0F47
	v_mul_f32_e32 v68, v68, v88                                // 000000006584: 0A88B144
	v_mul_f32_e32 v69, v69, v89                                // 000000006588: 0A8AB345
	v_mul_f32_e32 v70, v70, v90                                // 00000000658C: 0A8CB546
	v_mul_f32_e32 v71, v71, v91                                // 000000006590: 0A8EB747
	v_pk_mul_f32 v[4:5], v[72:73], v[72:73]                    // 000000006594: D3B14004 18029148
	v_pk_mul_f32 v[6:7], v[74:75], v[74:75]                    // 00000000659C: D3B14006 1802954A
	v_pk_fma_f32 v[4:5], v[4:5], s[78:79], v[8:9]              // 0000000065A4: D3B04004 1C209D04
	v_pk_fma_f32 v[6:7], v[6:7], s[78:79], v[8:9]              // 0000000065AC: D3B04006 1C209D06
	v_pk_mul_f32 v[4:5], v[4:5], v[72:73]                      // 0000000065B4: D3B14004 18029104
	v_pk_mul_f32 v[6:7], v[6:7], v[74:75]                      // 0000000065BC: D3B14006 18029506
	v_pk_mul_f32 v[4:5], v[4:5], s[60:61]                      // 0000000065C4: D3B14004 18007904
	v_pk_mul_f32 v[6:7], v[6:7], s[60:61]                      // 0000000065CC: D3B14006 18007906
	v_exp_f32_e32 v4, v4                                       // 0000000065D4: 7E084104
	v_exp_f32_e32 v5, v5                                       // 0000000065D8: 7E0A4105
	v_exp_f32_e32 v6, v6                                       // 0000000065DC: 7E0C4106
	v_exp_f32_e32 v7, v7                                       // 0000000065E0: 7E0E4107
	v_add_f32_e64 v4, v4, 1.0                                  // 0000000065E4: D1010004 0001E504
	v_add_f32_e64 v5, v5, 1.0                                  // 0000000065EC: D1010005 0001E505
	v_add_f32_e64 v6, v6, 1.0                                  // 0000000065F4: D1010006 0001E506
	v_add_f32_e64 v7, v7, 1.0                                  // 0000000065FC: D1010007 0001E507
	v_rcp_f32_e32 v4, v4                                       // 000000006604: 7E084504
	v_rcp_f32_e32 v5, v5                                       // 000000006608: 7E0A4505
	v_rcp_f32_e32 v6, v6                                       // 00000000660C: 7E0C4506
	v_rcp_f32_e32 v7, v7                                       // 000000006610: 7E0E4507
	v_mul_f32_e32 v72, v72, v4                                 // 000000006614: 0A900948
	v_mul_f32_e32 v73, v73, v5                                 // 000000006618: 0A920B49
	v_mul_f32_e32 v74, v74, v6                                 // 00000000661C: 0A940D4A
	v_mul_f32_e32 v75, v75, v7                                 // 000000006620: 0A960F4B
	v_mul_f32_e32 v72, v72, v92                                // 000000006624: 0A90B948
	v_mul_f32_e32 v73, v73, v93                                // 000000006628: 0A92BB49
	v_mul_f32_e32 v74, v74, v94                                // 00000000662C: 0A94BD4A
	v_mul_f32_e32 v75, v75, v95                                // 000000006630: 0A96BF4B
	v_pk_mul_f32 v[4:5], v[76:77], v[76:77]                    // 000000006634: D3B14004 1802994C
	v_pk_mul_f32 v[6:7], v[78:79], v[78:79]                    // 00000000663C: D3B14006 18029D4E
	v_pk_fma_f32 v[4:5], v[4:5], s[78:79], v[8:9]              // 000000006644: D3B04004 1C209D04
	v_pk_fma_f32 v[6:7], v[6:7], s[78:79], v[8:9]              // 00000000664C: D3B04006 1C209D06
	v_pk_mul_f32 v[4:5], v[4:5], v[76:77]                      // 000000006654: D3B14004 18029904
	v_pk_mul_f32 v[6:7], v[6:7], v[78:79]                      // 00000000665C: D3B14006 18029D06
	v_pk_mul_f32 v[4:5], v[4:5], s[60:61]                      // 000000006664: D3B14004 18007904
	v_pk_mul_f32 v[6:7], v[6:7], s[60:61]                      // 00000000666C: D3B14006 18007906
	v_exp_f32_e32 v4, v4                                       // 000000006674: 7E084104
	v_exp_f32_e32 v5, v5                                       // 000000006678: 7E0A4105
	v_exp_f32_e32 v6, v6                                       // 00000000667C: 7E0C4106
	v_exp_f32_e32 v7, v7                                       // 000000006680: 7E0E4107
	v_add_f32_e64 v4, v4, 1.0                                  // 000000006684: D1010004 0001E504
	v_add_f32_e64 v5, v5, 1.0                                  // 00000000668C: D1010005 0001E505
	v_add_f32_e64 v6, v6, 1.0                                  // 000000006694: D1010006 0001E506
	v_add_f32_e64 v7, v7, 1.0                                  // 00000000669C: D1010007 0001E507
	v_rcp_f32_e32 v4, v4                                       // 0000000066A4: 7E084504
	v_rcp_f32_e32 v5, v5                                       // 0000000066A8: 7E0A4505
	v_rcp_f32_e32 v6, v6                                       // 0000000066AC: 7E0C4506
	v_rcp_f32_e32 v7, v7                                       // 0000000066B0: 7E0E4507
	v_mul_f32_e32 v76, v76, v4                                 // 0000000066B4: 0A98094C
	v_mul_f32_e32 v77, v77, v5                                 // 0000000066B8: 0A9A0B4D
	v_mul_f32_e32 v78, v78, v6                                 // 0000000066BC: 0A9C0D4E
	v_mul_f32_e32 v79, v79, v7                                 // 0000000066C0: 0A9E0F4F
	v_mul_f32_e32 v76, v76, v96                                // 0000000066C4: 0A98C14C
	v_mul_f32_e32 v77, v77, v97                                // 0000000066C8: 0A9AC34D
	v_mul_f32_e32 v78, v78, v98                                // 0000000066CC: 0A9CC54E
	v_mul_f32_e32 v79, v79, v99                                // 0000000066D0: 0A9EC74F
	s_branch label_0FD9                                        // 0000000066D4: BF8200A0

00000000000066d8 <label_0F39>:
	v_mul_f32_e64 v4, -v60, s6                                 // 0000000066D8: D1050004 20000D3C
	v_mul_f32_e64 v5, -v61, s6                                 // 0000000066E0: D1050005 20000D3D
	v_mul_f32_e64 v6, -v62, s6                                 // 0000000066E8: D1050006 20000D3E
	v_mul_f32_e64 v7, -v63, s6                                 // 0000000066F0: D1050007 20000D3F
	v_exp_f32_e32 v4, v4                                       // 0000000066F8: 7E084104
	v_exp_f32_e32 v5, v5                                       // 0000000066FC: 7E0A4105
	v_exp_f32_e32 v6, v6                                       // 000000006700: 7E0C4106
	v_exp_f32_e32 v7, v7                                       // 000000006704: 7E0E4107
	v_add_f32_e64 v4, v4, 1.0                                  // 000000006708: D1010004 0001E504
	v_add_f32_e64 v5, v5, 1.0                                  // 000000006710: D1010005 0001E505
	v_add_f32_e64 v6, v6, 1.0                                  // 000000006718: D1010006 0001E506
	v_add_f32_e64 v7, v7, 1.0                                  // 000000006720: D1010007 0001E507
	v_rcp_f32_e32 v4, v4                                       // 000000006728: 7E084504
	v_rcp_f32_e32 v5, v5                                       // 00000000672C: 7E0A4505
	v_rcp_f32_e32 v6, v6                                       // 000000006730: 7E0C4506
	v_rcp_f32_e32 v7, v7                                       // 000000006734: 7E0E4507
	v_mul_f32_e32 v60, v60, v4                                 // 000000006738: 0A78093C
	v_mul_f32_e32 v61, v61, v5                                 // 00000000673C: 0A7A0B3D
	v_mul_f32_e32 v62, v62, v6                                 // 000000006740: 0A7C0D3E
	v_mul_f32_e32 v63, v63, v7                                 // 000000006744: 0A7E0F3F
	v_mul_f32_e32 v60, v60, v80                                // 000000006748: 0A78A13C
	v_mul_f32_e32 v61, v61, v81                                // 00000000674C: 0A7AA33D
	v_mul_f32_e32 v62, v62, v82                                // 000000006750: 0A7CA53E
	v_mul_f32_e32 v63, v63, v83                                // 000000006754: 0A7EA73F
	v_mul_f32_e64 v4, -v64, s6                                 // 000000006758: D1050004 20000D40
	v_mul_f32_e64 v5, -v65, s6                                 // 000000006760: D1050005 20000D41
	v_mul_f32_e64 v6, -v66, s6                                 // 000000006768: D1050006 20000D42
	v_mul_f32_e64 v7, -v67, s6                                 // 000000006770: D1050007 20000D43
	v_exp_f32_e32 v4, v4                                       // 000000006778: 7E084104
	v_exp_f32_e32 v5, v5                                       // 00000000677C: 7E0A4105
	v_exp_f32_e32 v6, v6                                       // 000000006780: 7E0C4106
	v_exp_f32_e32 v7, v7                                       // 000000006784: 7E0E4107
	v_add_f32_e64 v4, v4, 1.0                                  // 000000006788: D1010004 0001E504
	v_add_f32_e64 v5, v5, 1.0                                  // 000000006790: D1010005 0001E505
	v_add_f32_e64 v6, v6, 1.0                                  // 000000006798: D1010006 0001E506
	v_add_f32_e64 v7, v7, 1.0                                  // 0000000067A0: D1010007 0001E507
	v_rcp_f32_e32 v4, v4                                       // 0000000067A8: 7E084504
	v_rcp_f32_e32 v5, v5                                       // 0000000067AC: 7E0A4505
	v_rcp_f32_e32 v6, v6                                       // 0000000067B0: 7E0C4506
	v_rcp_f32_e32 v7, v7                                       // 0000000067B4: 7E0E4507
	v_mul_f32_e32 v64, v64, v4                                 // 0000000067B8: 0A800940
	v_mul_f32_e32 v65, v65, v5                                 // 0000000067BC: 0A820B41
	v_mul_f32_e32 v66, v66, v6                                 // 0000000067C0: 0A840D42
	v_mul_f32_e32 v67, v67, v7                                 // 0000000067C4: 0A860F43
	v_mul_f32_e32 v64, v64, v84                                // 0000000067C8: 0A80A940
	v_mul_f32_e32 v65, v65, v85                                // 0000000067CC: 0A82AB41
	v_mul_f32_e32 v66, v66, v86                                // 0000000067D0: 0A84AD42
	v_mul_f32_e32 v67, v67, v87                                // 0000000067D4: 0A86AF43
	v_mul_f32_e64 v4, -v68, s6                                 // 0000000067D8: D1050004 20000D44
	v_mul_f32_e64 v5, -v69, s6                                 // 0000000067E0: D1050005 20000D45
	v_mul_f32_e64 v6, -v70, s6                                 // 0000000067E8: D1050006 20000D46
	v_mul_f32_e64 v7, -v71, s6                                 // 0000000067F0: D1050007 20000D47
	v_exp_f32_e32 v4, v4                                       // 0000000067F8: 7E084104
	v_exp_f32_e32 v5, v5                                       // 0000000067FC: 7E0A4105
	v_exp_f32_e32 v6, v6                                       // 000000006800: 7E0C4106
	v_exp_f32_e32 v7, v7                                       // 000000006804: 7E0E4107
	v_add_f32_e64 v4, v4, 1.0                                  // 000000006808: D1010004 0001E504
	v_add_f32_e64 v5, v5, 1.0                                  // 000000006810: D1010005 0001E505
	v_add_f32_e64 v6, v6, 1.0                                  // 000000006818: D1010006 0001E506
	v_add_f32_e64 v7, v7, 1.0                                  // 000000006820: D1010007 0001E507
	v_rcp_f32_e32 v4, v4                                       // 000000006828: 7E084504
	v_rcp_f32_e32 v5, v5                                       // 00000000682C: 7E0A4505
	v_rcp_f32_e32 v6, v6                                       // 000000006830: 7E0C4506
	v_rcp_f32_e32 v7, v7                                       // 000000006834: 7E0E4507
	v_mul_f32_e32 v68, v68, v4                                 // 000000006838: 0A880944
	v_mul_f32_e32 v69, v69, v5                                 // 00000000683C: 0A8A0B45
	v_mul_f32_e32 v70, v70, v6                                 // 000000006840: 0A8C0D46
	v_mul_f32_e32 v71, v71, v7                                 // 000000006844: 0A8E0F47
	v_mul_f32_e32 v68, v68, v88                                // 000000006848: 0A88B144
	v_mul_f32_e32 v69, v69, v89                                // 00000000684C: 0A8AB345
	v_mul_f32_e32 v70, v70, v90                                // 000000006850: 0A8CB546
	v_mul_f32_e32 v71, v71, v91                                // 000000006854: 0A8EB747
	v_mul_f32_e64 v4, -v72, s6                                 // 000000006858: D1050004 20000D48
	v_mul_f32_e64 v5, -v73, s6                                 // 000000006860: D1050005 20000D49
	v_mul_f32_e64 v6, -v74, s6                                 // 000000006868: D1050006 20000D4A
	v_mul_f32_e64 v7, -v75, s6                                 // 000000006870: D1050007 20000D4B
	v_exp_f32_e32 v4, v4                                       // 000000006878: 7E084104
	v_exp_f32_e32 v5, v5                                       // 00000000687C: 7E0A4105
	v_exp_f32_e32 v6, v6                                       // 000000006880: 7E0C4106
	v_exp_f32_e32 v7, v7                                       // 000000006884: 7E0E4107
	v_add_f32_e64 v4, v4, 1.0                                  // 000000006888: D1010004 0001E504
	v_add_f32_e64 v5, v5, 1.0                                  // 000000006890: D1010005 0001E505
	v_add_f32_e64 v6, v6, 1.0                                  // 000000006898: D1010006 0001E506
	v_add_f32_e64 v7, v7, 1.0                                  // 0000000068A0: D1010007 0001E507
	v_rcp_f32_e32 v4, v4                                       // 0000000068A8: 7E084504
	v_rcp_f32_e32 v5, v5                                       // 0000000068AC: 7E0A4505
	v_rcp_f32_e32 v6, v6                                       // 0000000068B0: 7E0C4506
	v_rcp_f32_e32 v7, v7                                       // 0000000068B4: 7E0E4507
	v_mul_f32_e32 v72, v72, v4                                 // 0000000068B8: 0A900948
	v_mul_f32_e32 v73, v73, v5                                 // 0000000068BC: 0A920B49
	v_mul_f32_e32 v74, v74, v6                                 // 0000000068C0: 0A940D4A
	v_mul_f32_e32 v75, v75, v7                                 // 0000000068C4: 0A960F4B
	v_mul_f32_e32 v72, v72, v92                                // 0000000068C8: 0A90B948
	v_mul_f32_e32 v73, v73, v93                                // 0000000068CC: 0A92BB49
	v_mul_f32_e32 v74, v74, v94                                // 0000000068D0: 0A94BD4A
	v_mul_f32_e32 v75, v75, v95                                // 0000000068D4: 0A96BF4B
	v_mul_f32_e64 v4, -v76, s6                                 // 0000000068D8: D1050004 20000D4C
	v_mul_f32_e64 v5, -v77, s6                                 // 0000000068E0: D1050005 20000D4D
	v_mul_f32_e64 v6, -v78, s6                                 // 0000000068E8: D1050006 20000D4E
	v_mul_f32_e64 v7, -v79, s6                                 // 0000000068F0: D1050007 20000D4F
	v_exp_f32_e32 v4, v4                                       // 0000000068F8: 7E084104
	v_exp_f32_e32 v5, v5                                       // 0000000068FC: 7E0A4105
	v_exp_f32_e32 v6, v6                                       // 000000006900: 7E0C4106
	v_exp_f32_e32 v7, v7                                       // 000000006904: 7E0E4107
	v_add_f32_e64 v4, v4, 1.0                                  // 000000006908: D1010004 0001E504
	v_add_f32_e64 v5, v5, 1.0                                  // 000000006910: D1010005 0001E505
	v_add_f32_e64 v6, v6, 1.0                                  // 000000006918: D1010006 0001E506
	v_add_f32_e64 v7, v7, 1.0                                  // 000000006920: D1010007 0001E507
	v_rcp_f32_e32 v4, v4                                       // 000000006928: 7E084504
	v_rcp_f32_e32 v5, v5                                       // 00000000692C: 7E0A4505
	v_rcp_f32_e32 v6, v6                                       // 000000006930: 7E0C4506
	v_rcp_f32_e32 v7, v7                                       // 000000006934: 7E0E4507
	v_mul_f32_e32 v76, v76, v4                                 // 000000006938: 0A98094C
	v_mul_f32_e32 v77, v77, v5                                 // 00000000693C: 0A9A0B4D
	v_mul_f32_e32 v78, v78, v6                                 // 000000006940: 0A9C0D4E
	v_mul_f32_e32 v79, v79, v7                                 // 000000006944: 0A9E0F4F
	v_mul_f32_e32 v76, v76, v96                                // 000000006948: 0A98C14C
	v_mul_f32_e32 v77, v77, v97                                // 00000000694C: 0A9AC34D
	v_mul_f32_e32 v78, v78, v98                                // 000000006950: 0A9CC54E
	v_mul_f32_e32 v79, v79, v99                                // 000000006954: 0A9EC74F

0000000000006958 <label_0FD9>:
	v_cmp_u_f32_e64 s[46:47], v60, v60                         // 000000006958: D048002E 0002793C
	v_add3_u32 v16, v60, v19, 1                                // 000000006960: D1FF0010 0206273C
	v_cndmask_b32_e64 v4, v16, v18, s[46:47]                   // 000000006968: D1000004 00BA2510
	v_cmp_u_f32_e64 s[46:47], v61, v61                         // 000000006970: D048002E 00027B3D
	v_add3_u32 v16, v61, v19, 1                                // 000000006978: D1FF0010 0206273D
	v_cndmask_b32_e64 v5, v16, v18, s[46:47]                   // 000000006980: D1000005 00BA2510
	v_perm_b32 v60, v5, v4, s52                                // 000000006988: D1ED003C 00D20905
	v_cmp_u_f32_e64 s[46:47], v62, v62                         // 000000006990: D048002E 00027D3E
	v_add3_u32 v16, v62, v19, 1                                // 000000006998: D1FF0010 0206273E
	v_cndmask_b32_e64 v4, v16, v18, s[46:47]                   // 0000000069A0: D1000004 00BA2510
	v_cmp_u_f32_e64 s[46:47], v63, v63                         // 0000000069A8: D048002E 00027F3F
	v_add3_u32 v16, v63, v19, 1                                // 0000000069B0: D1FF0010 0206273F
	v_cndmask_b32_e64 v5, v16, v18, s[46:47]                   // 0000000069B8: D1000005 00BA2510
	v_perm_b32 v61, v5, v4, s52                                // 0000000069C0: D1ED003D 00D20905
	v_cmp_u_f32_e64 s[46:47], v64, v64                         // 0000000069C8: D048002E 00028140
	v_add3_u32 v16, v64, v19, 1                                // 0000000069D0: D1FF0010 02062740
	v_cndmask_b32_e64 v4, v16, v18, s[46:47]                   // 0000000069D8: D1000004 00BA2510
	v_cmp_u_f32_e64 s[46:47], v65, v65                         // 0000000069E0: D048002E 00028341
	v_add3_u32 v16, v65, v19, 1                                // 0000000069E8: D1FF0010 02062741
	v_cndmask_b32_e64 v5, v16, v18, s[46:47]                   // 0000000069F0: D1000005 00BA2510
	v_perm_b32 v62, v5, v4, s52                                // 0000000069F8: D1ED003E 00D20905
	v_cmp_u_f32_e64 s[46:47], v66, v66                         // 000000006A00: D048002E 00028542
	v_add3_u32 v16, v66, v19, 1                                // 000000006A08: D1FF0010 02062742
	v_cndmask_b32_e64 v4, v16, v18, s[46:47]                   // 000000006A10: D1000004 00BA2510
	v_cmp_u_f32_e64 s[46:47], v67, v67                         // 000000006A18: D048002E 00028743
	v_add3_u32 v16, v67, v19, 1                                // 000000006A20: D1FF0010 02062743
	v_cndmask_b32_e64 v5, v16, v18, s[46:47]                   // 000000006A28: D1000005 00BA2510
	v_perm_b32 v63, v5, v4, s52                                // 000000006A30: D1ED003F 00D20905
	v_cmp_u_f32_e64 s[46:47], v68, v68                         // 000000006A38: D048002E 00028944
	v_add3_u32 v16, v68, v19, 1                                // 000000006A40: D1FF0010 02062744
	v_cndmask_b32_e64 v4, v16, v18, s[46:47]                   // 000000006A48: D1000004 00BA2510
	v_cmp_u_f32_e64 s[46:47], v69, v69                         // 000000006A50: D048002E 00028B45
	v_add3_u32 v16, v69, v19, 1                                // 000000006A58: D1FF0010 02062745
	v_cndmask_b32_e64 v5, v16, v18, s[46:47]                   // 000000006A60: D1000005 00BA2510
	v_perm_b32 v64, v5, v4, s52                                // 000000006A68: D1ED0040 00D20905
	v_cmp_u_f32_e64 s[46:47], v70, v70                         // 000000006A70: D048002E 00028D46
	v_add3_u32 v16, v70, v19, 1                                // 000000006A78: D1FF0010 02062746
	v_cndmask_b32_e64 v4, v16, v18, s[46:47]                   // 000000006A80: D1000004 00BA2510
	v_cmp_u_f32_e64 s[46:47], v71, v71                         // 000000006A88: D048002E 00028F47
	v_add3_u32 v16, v71, v19, 1                                // 000000006A90: D1FF0010 02062747
	v_cndmask_b32_e64 v5, v16, v18, s[46:47]                   // 000000006A98: D1000005 00BA2510
	v_perm_b32 v65, v5, v4, s52                                // 000000006AA0: D1ED0041 00D20905
	v_cmp_u_f32_e64 s[46:47], v72, v72                         // 000000006AA8: D048002E 00029148
	v_add3_u32 v16, v72, v19, 1                                // 000000006AB0: D1FF0010 02062748
	v_cndmask_b32_e64 v4, v16, v18, s[46:47]                   // 000000006AB8: D1000004 00BA2510
	v_cmp_u_f32_e64 s[46:47], v73, v73                         // 000000006AC0: D048002E 00029349
	v_add3_u32 v16, v73, v19, 1                                // 000000006AC8: D1FF0010 02062749
	v_cndmask_b32_e64 v5, v16, v18, s[46:47]                   // 000000006AD0: D1000005 00BA2510
	v_perm_b32 v66, v5, v4, s52                                // 000000006AD8: D1ED0042 00D20905
	v_cmp_u_f32_e64 s[46:47], v74, v74                         // 000000006AE0: D048002E 0002954A
	v_add3_u32 v16, v74, v19, 1                                // 000000006AE8: D1FF0010 0206274A
	v_cndmask_b32_e64 v4, v16, v18, s[46:47]                   // 000000006AF0: D1000004 00BA2510
	v_cmp_u_f32_e64 s[46:47], v75, v75                         // 000000006AF8: D048002E 0002974B
	v_add3_u32 v16, v75, v19, 1                                // 000000006B00: D1FF0010 0206274B
	v_cndmask_b32_e64 v5, v16, v18, s[46:47]                   // 000000006B08: D1000005 00BA2510
	v_perm_b32 v67, v5, v4, s52                                // 000000006B10: D1ED0043 00D20905
	v_cmp_u_f32_e64 s[46:47], v76, v76                         // 000000006B18: D048002E 0002994C
	v_add3_u32 v16, v76, v19, 1                                // 000000006B20: D1FF0010 0206274C
	v_cndmask_b32_e64 v4, v16, v18, s[46:47]                   // 000000006B28: D1000004 00BA2510
	v_cmp_u_f32_e64 s[46:47], v77, v77                         // 000000006B30: D048002E 00029B4D
	v_add3_u32 v16, v77, v19, 1                                // 000000006B38: D1FF0010 0206274D
	v_cndmask_b32_e64 v5, v16, v18, s[46:47]                   // 000000006B40: D1000005 00BA2510
	v_perm_b32 v68, v5, v4, s52                                // 000000006B48: D1ED0044 00D20905
	v_cmp_u_f32_e64 s[46:47], v78, v78                         // 000000006B50: D048002E 00029D4E
	v_add3_u32 v16, v78, v19, 1                                // 000000006B58: D1FF0010 0206274E
	v_cndmask_b32_e64 v4, v16, v18, s[46:47]                   // 000000006B60: D1000004 00BA2510
	v_cmp_u_f32_e64 s[46:47], v79, v79                         // 000000006B68: D048002E 00029F4F
	v_add3_u32 v16, v79, v19, 1                                // 000000006B70: D1FF0010 0206274F
	v_cndmask_b32_e64 v5, v16, v18, s[46:47]                   // 000000006B78: D1000005 00BA2510
	v_perm_b32 v69, v5, v4, s52                                // 000000006B80: D1ED0045 00D20905
	ds_write_b64 v20, v[60:61]                                 // 000000006B88: D89A0000 00003C14
	ds_write_b64 v20, v[62:63] offset:2176                     // 000000006B90: D89A0880 00003E14
	ds_write_b64 v20, v[64:65] offset:4352                     // 000000006B98: D89A1100 00004014
	ds_write_b64 v20, v[66:67] offset:6528                     // 000000006BA0: D89A1980 00004214
	ds_write_b64 v20, v[68:69] offset:8704                     // 000000006BA8: D89A2200 00004414
	v_lshrrev_b32_e32 v4, 5, v0                                // 000000006BB0: 20080085
	v_xor_b32_e32 v5, 1, v4                                    // 000000006BB4: 2A0A0881
	s_mul_i32 s60, s65, 2                                      // 000000006BB8: 923C8241
	s_cmp_eq_u32 s88, 0                                        // 000000006BBC: BF068058
	s_cselect_b32 s61, 1, 4                                    // 000000006BC0: 853D8481
	s_mul_i32 s60, s61, s60                                    // 000000006BC4: 923C3C3D
	v_readlane_b32 s82, v3, 0                                  // 000000006BC8: D2890052 00010103
	s_lshr_b32 s61, s82, 24                                    // 000000006BD0: 8F3D9852
	s_and_b32 s82, s82, 0xffffff                               // 000000006BD4: 8652FF52 00FFFFFF
	s_mul_i32 s82, s82, s71                                    // 000000006BDC: 92524752
	s_mul_i32 s61, s60, s61                                    // 000000006BE0: 923D3D3C
	s_add_u32 s82, s82, s61                                    // 000000006BE4: 80523D52
	v_mul_lo_u32 v6, v5, s82                                   // 000000006BE8: D2850006 0000A505
	v_readlane_b32 s82, v3, 1                                  // 000000006BF0: D2890052 00010303
	s_lshr_b32 s61, s82, 24                                    // 000000006BF8: 8F3D9852
	s_and_b32 s82, s82, 0xffffff                               // 000000006BFC: 8652FF52 00FFFFFF
	s_mul_i32 s82, s82, s71                                    // 000000006C04: 92524752
	s_mul_i32 s61, s60, s61                                    // 000000006C08: 923D3D3C
	s_add_u32 s82, s82, s61                                    // 000000006C0C: 80523D52
	v_mul_lo_u32 v7, v4, s82                                   // 000000006C10: D2850007 0000A504
	v_add_u32_e32 v48, v6, v7                                  // 000000006C18: 68600F06
	v_readlane_b32 s82, v3, 2                                  // 000000006C1C: D2890052 00010503
	s_lshr_b32 s61, s82, 24                                    // 000000006C24: 8F3D9852
	s_and_b32 s82, s82, 0xffffff                               // 000000006C28: 8652FF52 00FFFFFF
	s_mul_i32 s82, s82, s71                                    // 000000006C30: 92524752
	s_mul_i32 s61, s60, s61                                    // 000000006C34: 923D3D3C
	s_add_u32 s82, s82, s61                                    // 000000006C38: 80523D52
	v_mul_lo_u32 v6, v5, s82                                   // 000000006C3C: D2850006 0000A505
	v_readlane_b32 s82, v3, 3                                  // 000000006C44: D2890052 00010703
	s_lshr_b32 s61, s82, 24                                    // 000000006C4C: 8F3D9852
	s_and_b32 s82, s82, 0xffffff                               // 000000006C50: 8652FF52 00FFFFFF
	s_mul_i32 s82, s82, s71                                    // 000000006C58: 92524752
	s_mul_i32 s61, s60, s61                                    // 000000006C5C: 923D3D3C
	s_add_u32 s82, s82, s61                                    // 000000006C60: 80523D52
	v_mul_lo_u32 v7, v4, s82                                   // 000000006C64: D2850007 0000A504
	v_add_u32_e32 v49, v6, v7                                  // 000000006C6C: 68620F06
	v_readlane_b32 s82, v3, 4                                  // 000000006C70: D2890052 00010903
	s_lshr_b32 s61, s82, 24                                    // 000000006C78: 8F3D9852
	s_and_b32 s82, s82, 0xffffff                               // 000000006C7C: 8652FF52 00FFFFFF
	s_mul_i32 s82, s82, s71                                    // 000000006C84: 92524752
	s_mul_i32 s61, s60, s61                                    // 000000006C88: 923D3D3C
	s_add_u32 s82, s82, s61                                    // 000000006C8C: 80523D52
	v_mul_lo_u32 v6, v5, s82                                   // 000000006C90: D2850006 0000A505
	v_readlane_b32 s82, v3, 5                                  // 000000006C98: D2890052 00010B03
	s_lshr_b32 s61, s82, 24                                    // 000000006CA0: 8F3D9852
	s_and_b32 s82, s82, 0xffffff                               // 000000006CA4: 8652FF52 00FFFFFF
	s_mul_i32 s82, s82, s71                                    // 000000006CAC: 92524752
	s_mul_i32 s61, s60, s61                                    // 000000006CB0: 923D3D3C
	s_add_u32 s82, s82, s61                                    // 000000006CB4: 80523D52
	v_mul_lo_u32 v7, v4, s82                                   // 000000006CB8: D2850007 0000A504
	v_add_u32_e32 v50, v6, v7                                  // 000000006CC0: 68640F06
	v_readlane_b32 s82, v3, 6                                  // 000000006CC4: D2890052 00010D03
	s_lshr_b32 s61, s82, 24                                    // 000000006CCC: 8F3D9852
	s_and_b32 s82, s82, 0xffffff                               // 000000006CD0: 8652FF52 00FFFFFF
	s_mul_i32 s82, s82, s71                                    // 000000006CD8: 92524752
	s_mul_i32 s61, s60, s61                                    // 000000006CDC: 923D3D3C
	s_add_u32 s82, s82, s61                                    // 000000006CE0: 80523D52
	v_mul_lo_u32 v6, v5, s82                                   // 000000006CE4: D2850006 0000A505
	v_readlane_b32 s82, v3, 7                                  // 000000006CEC: D2890052 00010F03
	s_lshr_b32 s61, s82, 24                                    // 000000006CF4: 8F3D9852
	s_and_b32 s82, s82, 0xffffff                               // 000000006CF8: 8652FF52 00FFFFFF
	s_mul_i32 s82, s82, s71                                    // 000000006D00: 92524752
	s_mul_i32 s61, s60, s61                                    // 000000006D04: 923D3D3C
	s_add_u32 s82, s82, s61                                    // 000000006D08: 80523D52
	v_mul_lo_u32 v7, v4, s82                                   // 000000006D0C: D2850007 0000A504
	v_add_u32_e32 v51, v6, v7                                  // 000000006D14: 68660F06
	v_readlane_b32 s82, v3, 8                                  // 000000006D18: D2890052 00011103
	s_lshr_b32 s61, s82, 24                                    // 000000006D20: 8F3D9852
	s_and_b32 s82, s82, 0xffffff                               // 000000006D24: 8652FF52 00FFFFFF
	s_mul_i32 s82, s82, s71                                    // 000000006D2C: 92524752
	s_mul_i32 s61, s60, s61                                    // 000000006D30: 923D3D3C
	s_add_u32 s82, s82, s61                                    // 000000006D34: 80523D52
	v_mul_lo_u32 v6, v5, s82                                   // 000000006D38: D2850006 0000A505
	v_readlane_b32 s82, v3, 9                                  // 000000006D40: D2890052 00011303
	s_lshr_b32 s61, s82, 24                                    // 000000006D48: 8F3D9852
	s_and_b32 s82, s82, 0xffffff                               // 000000006D4C: 8652FF52 00FFFFFF
	s_mul_i32 s82, s82, s71                                    // 000000006D54: 92524752
	s_mul_i32 s61, s60, s61                                    // 000000006D58: 923D3D3C
	s_add_u32 s82, s82, s61                                    // 000000006D5C: 80523D52
	v_mul_lo_u32 v7, v4, s82                                   // 000000006D60: D2850007 0000A504
	v_add_u32_e32 v52, v6, v7                                  // 000000006D68: 68680F06
	v_readlane_b32 s82, v3, 10                                 // 000000006D6C: D2890052 00011503
	s_lshr_b32 s61, s82, 24                                    // 000000006D74: 8F3D9852
	s_and_b32 s82, s82, 0xffffff                               // 000000006D78: 8652FF52 00FFFFFF
	s_mul_i32 s82, s82, s71                                    // 000000006D80: 92524752
	s_mul_i32 s61, s60, s61                                    // 000000006D84: 923D3D3C
	s_add_u32 s82, s82, s61                                    // 000000006D88: 80523D52
	v_mul_lo_u32 v6, v5, s82                                   // 000000006D8C: D2850006 0000A505
	v_readlane_b32 s82, v3, 11                                 // 000000006D94: D2890052 00011703
	s_lshr_b32 s61, s82, 24                                    // 000000006D9C: 8F3D9852
	s_and_b32 s82, s82, 0xffffff                               // 000000006DA0: 8652FF52 00FFFFFF
	s_mul_i32 s82, s82, s71                                    // 000000006DA8: 92524752
	s_mul_i32 s61, s60, s61                                    // 000000006DAC: 923D3D3C
	s_add_u32 s82, s82, s61                                    // 000000006DB0: 80523D52
	v_mul_lo_u32 v7, v4, s82                                   // 000000006DB4: D2850007 0000A504
	v_add_u32_e32 v53, v6, v7                                  // 000000006DBC: 686A0F06
	v_readlane_b32 s82, v3, 12                                 // 000000006DC0: D2890052 00011903
	s_lshr_b32 s61, s82, 24                                    // 000000006DC8: 8F3D9852
	s_and_b32 s82, s82, 0xffffff                               // 000000006DCC: 8652FF52 00FFFFFF
	s_mul_i32 s82, s82, s71                                    // 000000006DD4: 92524752
	s_mul_i32 s61, s60, s61                                    // 000000006DD8: 923D3D3C
	s_add_u32 s82, s82, s61                                    // 000000006DDC: 80523D52
	v_mul_lo_u32 v6, v5, s82                                   // 000000006DE0: D2850006 0000A505
	v_readlane_b32 s82, v3, 13                                 // 000000006DE8: D2890052 00011B03
	s_lshr_b32 s61, s82, 24                                    // 000000006DF0: 8F3D9852
	s_and_b32 s82, s82, 0xffffff                               // 000000006DF4: 8652FF52 00FFFFFF
	s_mul_i32 s82, s82, s71                                    // 000000006DFC: 92524752
	s_mul_i32 s61, s60, s61                                    // 000000006E00: 923D3D3C
	s_add_u32 s82, s82, s61                                    // 000000006E04: 80523D52
	v_mul_lo_u32 v7, v4, s82                                   // 000000006E08: D2850007 0000A504
	v_add_u32_e32 v54, v6, v7                                  // 000000006E10: 686C0F06
	v_readlane_b32 s82, v3, 14                                 // 000000006E14: D2890052 00011D03
	s_lshr_b32 s61, s82, 24                                    // 000000006E1C: 8F3D9852
	s_and_b32 s82, s82, 0xffffff                               // 000000006E20: 8652FF52 00FFFFFF
	s_mul_i32 s82, s82, s71                                    // 000000006E28: 92524752
	s_mul_i32 s61, s60, s61                                    // 000000006E2C: 923D3D3C
	s_add_u32 s82, s82, s61                                    // 000000006E30: 80523D52
	v_mul_lo_u32 v6, v5, s82                                   // 000000006E34: D2850006 0000A505
	v_readlane_b32 s82, v3, 15                                 // 000000006E3C: D2890052 00011F03
	s_lshr_b32 s61, s82, 24                                    // 000000006E44: 8F3D9852
	s_and_b32 s82, s82, 0xffffff                               // 000000006E48: 8652FF52 00FFFFFF
	s_mul_i32 s82, s82, s71                                    // 000000006E50: 92524752
	s_mul_i32 s61, s60, s61                                    // 000000006E54: 923D3D3C
	s_add_u32 s82, s82, s61                                    // 000000006E58: 80523D52
	v_mul_lo_u32 v7, v4, s82                                   // 000000006E5C: D2850007 0000A504
	v_add_u32_e32 v55, v6, v7                                  // 000000006E64: 686E0F06
	v_readlane_b32 s82, v3, 16                                 // 000000006E68: D2890052 00012103
	s_lshr_b32 s61, s82, 24                                    // 000000006E70: 8F3D9852
	s_and_b32 s82, s82, 0xffffff                               // 000000006E74: 8652FF52 00FFFFFF
	s_mul_i32 s82, s82, s71                                    // 000000006E7C: 92524752
	s_mul_i32 s61, s60, s61                                    // 000000006E80: 923D3D3C
	s_add_u32 s82, s82, s61                                    // 000000006E84: 80523D52
	v_mul_lo_u32 v6, v5, s82                                   // 000000006E88: D2850006 0000A505
	v_readlane_b32 s82, v3, 17                                 // 000000006E90: D2890052 00012303
	s_lshr_b32 s61, s82, 24                                    // 000000006E98: 8F3D9852
	s_and_b32 s82, s82, 0xffffff                               // 000000006E9C: 8652FF52 00FFFFFF
	s_mul_i32 s82, s82, s71                                    // 000000006EA4: 92524752
	s_mul_i32 s61, s60, s61                                    // 000000006EA8: 923D3D3C
	s_add_u32 s82, s82, s61                                    // 000000006EAC: 80523D52
	v_mul_lo_u32 v7, v4, s82                                   // 000000006EB0: D2850007 0000A504
	v_add_u32_e32 v56, v6, v7                                  // 000000006EB8: 68700F06
	v_readlane_b32 s82, v3, 18                                 // 000000006EBC: D2890052 00012503
	s_lshr_b32 s61, s82, 24                                    // 000000006EC4: 8F3D9852
	s_and_b32 s82, s82, 0xffffff                               // 000000006EC8: 8652FF52 00FFFFFF
	s_mul_i32 s82, s82, s71                                    // 000000006ED0: 92524752
	s_mul_i32 s61, s60, s61                                    // 000000006ED4: 923D3D3C
	s_add_u32 s82, s82, s61                                    // 000000006ED8: 80523D52
	v_mul_lo_u32 v6, v5, s82                                   // 000000006EDC: D2850006 0000A505
	v_readlane_b32 s82, v3, 19                                 // 000000006EE4: D2890052 00012703
	s_lshr_b32 s61, s82, 24                                    // 000000006EEC: 8F3D9852
	s_and_b32 s82, s82, 0xffffff                               // 000000006EF0: 8652FF52 00FFFFFF
	s_mul_i32 s82, s82, s71                                    // 000000006EF8: 92524752
	s_mul_i32 s61, s60, s61                                    // 000000006EFC: 923D3D3C
	s_add_u32 s82, s82, s61                                    // 000000006F00: 80523D52
	v_mul_lo_u32 v7, v4, s82                                   // 000000006F04: D2850007 0000A504
	v_add_u32_e32 v57, v6, v7                                  // 000000006F0C: 68720F06
	v_and_b32_e32 v4, 31, v0                                   // 000000006F10: 2608009F
	v_lshrrev_b32_e32 v4, 1, v4                                // 000000006F14: 20080881
	s_cmp_eq_u32 s88, 0                                        // 000000006F18: BF068058
	s_cselect_b32 s61, 2, 4                                    // 000000006F1C: 853D8482
	v_mul_lo_u32 v4, v4, s61                                   // 000000006F20: D2850004 00007B04
	v_and_b32_e64 v5, v0, 1                                    // 000000006F28: D1130005 00010300
	v_add_u32_e32 v4, v4, v5                                   // 000000006F30: 68080B04
	v_lshlrev_b32_e32 v4, 2, v4                                // 000000006F34: 24080882
	v_add_u32_e32 v48, v48, v4                                 // 000000006F38: 68600930
	v_add_u32_e32 v49, v49, v4                                 // 000000006F3C: 68620931
	v_add_u32_e32 v50, v50, v4                                 // 000000006F40: 68640932
	v_add_u32_e32 v51, v51, v4                                 // 000000006F44: 68660933
	v_add_u32_e32 v52, v52, v4                                 // 000000006F48: 68680934
	v_add_u32_e32 v53, v53, v4                                 // 000000006F4C: 686A0935
	v_add_u32_e32 v54, v54, v4                                 // 000000006F50: 686C0936
	v_add_u32_e32 v55, v55, v4                                 // 000000006F54: 686E0937
	v_add_u32_e32 v56, v56, v4                                 // 000000006F58: 68700938
	v_add_u32_e32 v57, v57, v4                                 // 000000006F5C: 68720939
	s_waitcnt lgkmcnt(0)                                       // 000000006F60: BF8CC07F
	s_barrier                                                  // 000000006F64: BF8A0000
	ds_read_b32 v60, v21                                       // 000000006F68: D86C0000 3C000015
	ds_read_b32 v61, v21 offset:64                             // 000000006F70: D86C0040 3D000015
	ds_read_b32 v62, v21 offset:2176                           // 000000006F78: D86C0880 3E000015
	ds_read_b32 v63, v21 offset:2240                           // 000000006F80: D86C08C0 3F000015
	ds_read_b32 v64, v21 offset:4352                           // 000000006F88: D86C1100 40000015
	ds_read_b32 v65, v21 offset:4416                           // 000000006F90: D86C1140 41000015
	ds_read_b32 v66, v21 offset:6528                           // 000000006F98: D86C1980 42000015
	ds_read_b32 v67, v21 offset:6592                           // 000000006FA0: D86C19C0 43000015
	ds_read_b32 v68, v21 offset:8704                           // 000000006FA8: D86C2200 44000015
	ds_read_b32 v69, v21 offset:8768                           // 000000006FB0: D86C2240 45000015
	s_waitcnt lgkmcnt(0)                                       // 000000006FB8: BF8CC07F
	s_mov_b32 s36, -1                                          // 000000006FBC: BEA400C1
	s_mov_b32 s37, -1                                          // 000000006FC0: BEA500C1
	v_mov_b32_e32 v7, 0                                        // 000000006FC4: 7E0E0280
	s_or_b32 s9, s9, 0x40000                                   // 000000006FC8: 8709FF09 00040000
	s_mov_b64 exec, s[36:37]                                   // 000000006FD0: BEFE0124
	v_mov_b32_e32 v6, v48                                      // 000000006FD4: 7E0C0330
	s_mov_b64 s[60:61], 0                                      // 000000006FD8: BEBC0180
	v_readlane_b32 s82, v3, 0                                  // 000000006FDC: D2890052 00010103
	s_and_b32 s82, s82, 0xffffff                               // 000000006FE4: 8652FF52 00FFFFFF
	s_cmp_lt_u32 s82, s66                                      // 000000006FEC: BF0A4252
	s_cselect_b32 s20, s36, s60                                // 000000006FF0: 85143C24
	v_readlane_b32 s82, v3, 1                                  // 000000006FF4: D2890052 00010303
	s_and_b32 s82, s82, 0xffffff                               // 000000006FFC: 8652FF52 00FFFFFF
	s_cmp_lt_u32 s82, s66                                      // 000000007004: BF0A4252
	s_cselect_b32 s21, s36, s60                                // 000000007008: 85153C24
	s_mov_b64 exec, s[20:21]                                   // 00000000700C: BEFE0114
	buffer_store_dword v60, v6, s[8:11], 0 offen               // 000000007010: E0701000 80023C06
	s_mov_b64 exec, s[36:37]                                   // 000000007018: BEFE0124
	v_mov_b32_e32 v6, v49                                      // 00000000701C: 7E0C0331
	s_mov_b64 s[60:61], 0                                      // 000000007020: BEBC0180
	v_readlane_b32 s82, v3, 2                                  // 000000007024: D2890052 00010503
	s_and_b32 s82, s82, 0xffffff                               // 00000000702C: 8652FF52 00FFFFFF
	s_cmp_lt_u32 s82, s66                                      // 000000007034: BF0A4252
	s_cselect_b32 s20, s36, s60                                // 000000007038: 85143C24
	v_readlane_b32 s82, v3, 3                                  // 00000000703C: D2890052 00010703
	s_and_b32 s82, s82, 0xffffff                               // 000000007044: 8652FF52 00FFFFFF
	s_cmp_lt_u32 s82, s66                                      // 00000000704C: BF0A4252
	s_cselect_b32 s21, s36, s60                                // 000000007050: 85153C24
	s_mov_b64 exec, s[20:21]                                   // 000000007054: BEFE0114
	buffer_store_dword v61, v6, s[8:11], 0 offen               // 000000007058: E0701000 80023D06
	s_mov_b64 exec, s[36:37]                                   // 000000007060: BEFE0124
	v_mov_b32_e32 v6, v50                                      // 000000007064: 7E0C0332
	s_mov_b64 s[60:61], 0                                      // 000000007068: BEBC0180
	v_readlane_b32 s82, v3, 4                                  // 00000000706C: D2890052 00010903
	s_and_b32 s82, s82, 0xffffff                               // 000000007074: 8652FF52 00FFFFFF
	s_cmp_lt_u32 s82, s66                                      // 00000000707C: BF0A4252
	s_cselect_b32 s20, s36, s60                                // 000000007080: 85143C24
	v_readlane_b32 s82, v3, 5                                  // 000000007084: D2890052 00010B03
	s_and_b32 s82, s82, 0xffffff                               // 00000000708C: 8652FF52 00FFFFFF
	s_cmp_lt_u32 s82, s66                                      // 000000007094: BF0A4252
	s_cselect_b32 s21, s36, s60                                // 000000007098: 85153C24
	s_mov_b64 exec, s[20:21]                                   // 00000000709C: BEFE0114
	buffer_store_dword v62, v6, s[8:11], 0 offen               // 0000000070A0: E0701000 80023E06
	s_mov_b64 exec, s[36:37]                                   // 0000000070A8: BEFE0124
	v_mov_b32_e32 v6, v51                                      // 0000000070AC: 7E0C0333
	s_mov_b64 s[60:61], 0                                      // 0000000070B0: BEBC0180
	v_readlane_b32 s82, v3, 6                                  // 0000000070B4: D2890052 00010D03
	s_and_b32 s82, s82, 0xffffff                               // 0000000070BC: 8652FF52 00FFFFFF
	s_cmp_lt_u32 s82, s66                                      // 0000000070C4: BF0A4252
	s_cselect_b32 s20, s36, s60                                // 0000000070C8: 85143C24
	v_readlane_b32 s82, v3, 7                                  // 0000000070CC: D2890052 00010F03
	s_and_b32 s82, s82, 0xffffff                               // 0000000070D4: 8652FF52 00FFFFFF
	s_cmp_lt_u32 s82, s66                                      // 0000000070DC: BF0A4252
	s_cselect_b32 s21, s36, s60                                // 0000000070E0: 85153C24
	s_mov_b64 exec, s[20:21]                                   // 0000000070E4: BEFE0114
	buffer_store_dword v63, v6, s[8:11], 0 offen               // 0000000070E8: E0701000 80023F06
	s_mov_b64 exec, s[36:37]                                   // 0000000070F0: BEFE0124
	v_mov_b32_e32 v6, v52                                      // 0000000070F4: 7E0C0334
	s_mov_b64 s[60:61], 0                                      // 0000000070F8: BEBC0180
	v_readlane_b32 s82, v3, 8                                  // 0000000070FC: D2890052 00011103
	s_and_b32 s82, s82, 0xffffff                               // 000000007104: 8652FF52 00FFFFFF
	s_cmp_lt_u32 s82, s66                                      // 00000000710C: BF0A4252
	s_cselect_b32 s20, s36, s60                                // 000000007110: 85143C24
	v_readlane_b32 s82, v3, 9                                  // 000000007114: D2890052 00011303
	s_and_b32 s82, s82, 0xffffff                               // 00000000711C: 8652FF52 00FFFFFF
	s_cmp_lt_u32 s82, s66                                      // 000000007124: BF0A4252
	s_cselect_b32 s21, s36, s60                                // 000000007128: 85153C24
	s_mov_b64 exec, s[20:21]                                   // 00000000712C: BEFE0114
	buffer_store_dword v64, v6, s[8:11], 0 offen               // 000000007130: E0701000 80024006
	s_mov_b64 exec, s[36:37]                                   // 000000007138: BEFE0124
	v_mov_b32_e32 v6, v53                                      // 00000000713C: 7E0C0335
	s_mov_b64 s[60:61], 0                                      // 000000007140: BEBC0180
	v_readlane_b32 s82, v3, 10                                 // 000000007144: D2890052 00011503
	s_and_b32 s82, s82, 0xffffff                               // 00000000714C: 8652FF52 00FFFFFF
	s_cmp_lt_u32 s82, s66                                      // 000000007154: BF0A4252
	s_cselect_b32 s20, s36, s60                                // 000000007158: 85143C24
	v_readlane_b32 s82, v3, 11                                 // 00000000715C: D2890052 00011703
	s_and_b32 s82, s82, 0xffffff                               // 000000007164: 8652FF52 00FFFFFF
	s_cmp_lt_u32 s82, s66                                      // 00000000716C: BF0A4252
	s_cselect_b32 s21, s36, s60                                // 000000007170: 85153C24
	s_mov_b64 exec, s[20:21]                                   // 000000007174: BEFE0114
	buffer_store_dword v65, v6, s[8:11], 0 offen               // 000000007178: E0701000 80024106
	s_mov_b64 exec, s[36:37]                                   // 000000007180: BEFE0124
	v_mov_b32_e32 v6, v54                                      // 000000007184: 7E0C0336
	s_mov_b64 s[60:61], 0                                      // 000000007188: BEBC0180
	v_readlane_b32 s82, v3, 12                                 // 00000000718C: D2890052 00011903
	s_and_b32 s82, s82, 0xffffff                               // 000000007194: 8652FF52 00FFFFFF
	s_cmp_lt_u32 s82, s66                                      // 00000000719C: BF0A4252
	s_cselect_b32 s20, s36, s60                                // 0000000071A0: 85143C24
	v_readlane_b32 s82, v3, 13                                 // 0000000071A4: D2890052 00011B03
	s_and_b32 s82, s82, 0xffffff                               // 0000000071AC: 8652FF52 00FFFFFF
	s_cmp_lt_u32 s82, s66                                      // 0000000071B4: BF0A4252
	s_cselect_b32 s21, s36, s60                                // 0000000071B8: 85153C24
	s_mov_b64 exec, s[20:21]                                   // 0000000071BC: BEFE0114
	buffer_store_dword v66, v6, s[8:11], 0 offen               // 0000000071C0: E0701000 80024206
	s_mov_b64 exec, s[36:37]                                   // 0000000071C8: BEFE0124
	v_mov_b32_e32 v6, v55                                      // 0000000071CC: 7E0C0337
	s_mov_b64 s[60:61], 0                                      // 0000000071D0: BEBC0180
	v_readlane_b32 s82, v3, 14                                 // 0000000071D4: D2890052 00011D03
	s_and_b32 s82, s82, 0xffffff                               // 0000000071DC: 8652FF52 00FFFFFF
	s_cmp_lt_u32 s82, s66                                      // 0000000071E4: BF0A4252
	s_cselect_b32 s20, s36, s60                                // 0000000071E8: 85143C24
	v_readlane_b32 s82, v3, 15                                 // 0000000071EC: D2890052 00011F03
	s_and_b32 s82, s82, 0xffffff                               // 0000000071F4: 8652FF52 00FFFFFF
	s_cmp_lt_u32 s82, s66                                      // 0000000071FC: BF0A4252
	s_cselect_b32 s21, s36, s60                                // 000000007200: 85153C24
	s_mov_b64 exec, s[20:21]                                   // 000000007204: BEFE0114
	buffer_store_dword v67, v6, s[8:11], 0 offen               // 000000007208: E0701000 80024306
	s_mov_b64 exec, s[36:37]                                   // 000000007210: BEFE0124
	v_mov_b32_e32 v6, v56                                      // 000000007214: 7E0C0338
	s_mov_b64 s[60:61], 0                                      // 000000007218: BEBC0180
	v_readlane_b32 s82, v3, 16                                 // 00000000721C: D2890052 00012103
	s_and_b32 s82, s82, 0xffffff                               // 000000007224: 8652FF52 00FFFFFF
	s_cmp_lt_u32 s82, s66                                      // 00000000722C: BF0A4252
	s_cselect_b32 s20, s36, s60                                // 000000007230: 85143C24
	v_readlane_b32 s82, v3, 17                                 // 000000007234: D2890052 00012303
	s_and_b32 s82, s82, 0xffffff                               // 00000000723C: 8652FF52 00FFFFFF
	s_cmp_lt_u32 s82, s66                                      // 000000007244: BF0A4252
	s_cselect_b32 s21, s36, s60                                // 000000007248: 85153C24
	s_mov_b64 exec, s[20:21]                                   // 00000000724C: BEFE0114
	buffer_store_dword v68, v6, s[8:11], 0 offen               // 000000007250: E0701000 80024406
	s_mov_b64 exec, s[36:37]                                   // 000000007258: BEFE0124
	v_mov_b32_e32 v6, v57                                      // 00000000725C: 7E0C0339
	s_mov_b64 s[60:61], 0                                      // 000000007260: BEBC0180
	v_readlane_b32 s82, v3, 18                                 // 000000007264: D2890052 00012503
	s_and_b32 s82, s82, 0xffffff                               // 00000000726C: 8652FF52 00FFFFFF
	s_cmp_lt_u32 s82, s66                                      // 000000007274: BF0A4252
	s_cselect_b32 s20, s36, s60                                // 000000007278: 85143C24
	v_readlane_b32 s82, v3, 19                                 // 00000000727C: D2890052 00012703
	s_and_b32 s82, s82, 0xffffff                               // 000000007284: 8652FF52 00FFFFFF
	s_cmp_lt_u32 s82, s66                                      // 00000000728C: BF0A4252
	s_cselect_b32 s21, s36, s60                                // 000000007290: 85153C24
	s_mov_b64 exec, s[20:21]                                   // 000000007294: BEFE0114
	buffer_store_dword v69, v6, s[8:11], 0 offen               // 000000007298: E0701000 80024506
	s_mov_b64 exec, s[36:37]                                   // 0000000072A0: BEFE0124
	s_branch label_167B                                        // 0000000072A4: BF82044E

00000000000072a8 <label_122D>:
	ds_write_b64 v20, v[60:61]                                 // 0000000072A8: D89A0000 00003C14
	ds_write_b64 v20, v[64:65] offset:2176                     // 0000000072B0: D89A0880 00004014
	ds_write_b64 v20, v[68:69] offset:4352                     // 0000000072B8: D89A1100 00004414
	ds_write_b64 v20, v[72:73] offset:6528                     // 0000000072C0: D89A1980 00004814
	ds_write_b64 v20, v[76:77] offset:8704                     // 0000000072C8: D89A2200 00004C14
	v_lshrrev_b32_e32 v4, 5, v0                                // 0000000072D0: 20080085
	v_xor_b32_e32 v5, 1, v4                                    // 0000000072D4: 2A0A0881
	s_mul_i32 s60, s65, 2                                      // 0000000072D8: 923C8241
	s_cmp_eq_u32 s88, 0                                        // 0000000072DC: BF068058
	s_cselect_b32 s61, 1, 4                                    // 0000000072E0: 853D8481
	s_mul_i32 s60, s61, s60                                    // 0000000072E4: 923C3C3D
	v_readlane_b32 s82, v3, 0                                  // 0000000072E8: D2890052 00010103
	s_lshr_b32 s61, s82, 24                                    // 0000000072F0: 8F3D9852
	s_and_b32 s82, s82, 0xffffff                               // 0000000072F4: 8652FF52 00FFFFFF
	s_mul_i32 s82, s82, s71                                    // 0000000072FC: 92524752
	s_mul_i32 s61, s60, s61                                    // 000000007300: 923D3D3C
	s_add_u32 s82, s82, s61                                    // 000000007304: 80523D52
	v_mul_lo_u32 v6, v5, s82                                   // 000000007308: D2850006 0000A505
	v_readlane_b32 s82, v3, 1                                  // 000000007310: D2890052 00010303
	s_lshr_b32 s61, s82, 24                                    // 000000007318: 8F3D9852
	s_and_b32 s82, s82, 0xffffff                               // 00000000731C: 8652FF52 00FFFFFF
	s_mul_i32 s82, s82, s71                                    // 000000007324: 92524752
	s_mul_i32 s61, s60, s61                                    // 000000007328: 923D3D3C
	s_add_u32 s82, s82, s61                                    // 00000000732C: 80523D52
	v_mul_lo_u32 v7, v4, s82                                   // 000000007330: D2850007 0000A504
	v_add_u32_e32 v48, v6, v7                                  // 000000007338: 68600F06
	v_readlane_b32 s82, v3, 2                                  // 00000000733C: D2890052 00010503
	s_lshr_b32 s61, s82, 24                                    // 000000007344: 8F3D9852
	s_and_b32 s82, s82, 0xffffff                               // 000000007348: 8652FF52 00FFFFFF
	s_mul_i32 s82, s82, s71                                    // 000000007350: 92524752
	s_mul_i32 s61, s60, s61                                    // 000000007354: 923D3D3C
	s_add_u32 s82, s82, s61                                    // 000000007358: 80523D52
	v_mul_lo_u32 v6, v5, s82                                   // 00000000735C: D2850006 0000A505
	v_readlane_b32 s82, v3, 3                                  // 000000007364: D2890052 00010703
	s_lshr_b32 s61, s82, 24                                    // 00000000736C: 8F3D9852
	s_and_b32 s82, s82, 0xffffff                               // 000000007370: 8652FF52 00FFFFFF
	s_mul_i32 s82, s82, s71                                    // 000000007378: 92524752
	s_mul_i32 s61, s60, s61                                    // 00000000737C: 923D3D3C
	s_add_u32 s82, s82, s61                                    // 000000007380: 80523D52
	v_mul_lo_u32 v7, v4, s82                                   // 000000007384: D2850007 0000A504
	v_add_u32_e32 v49, v6, v7                                  // 00000000738C: 68620F06
	v_readlane_b32 s82, v3, 4                                  // 000000007390: D2890052 00010903
	s_lshr_b32 s61, s82, 24                                    // 000000007398: 8F3D9852
	s_and_b32 s82, s82, 0xffffff                               // 00000000739C: 8652FF52 00FFFFFF
	s_mul_i32 s82, s82, s71                                    // 0000000073A4: 92524752
	s_mul_i32 s61, s60, s61                                    // 0000000073A8: 923D3D3C
	s_add_u32 s82, s82, s61                                    // 0000000073AC: 80523D52
	v_mul_lo_u32 v6, v5, s82                                   // 0000000073B0: D2850006 0000A505
	v_readlane_b32 s82, v3, 5                                  // 0000000073B8: D2890052 00010B03
	s_lshr_b32 s61, s82, 24                                    // 0000000073C0: 8F3D9852
	s_and_b32 s82, s82, 0xffffff                               // 0000000073C4: 8652FF52 00FFFFFF
	s_mul_i32 s82, s82, s71                                    // 0000000073CC: 92524752
	s_mul_i32 s61, s60, s61                                    // 0000000073D0: 923D3D3C
	s_add_u32 s82, s82, s61                                    // 0000000073D4: 80523D52
	v_mul_lo_u32 v7, v4, s82                                   // 0000000073D8: D2850007 0000A504
	v_add_u32_e32 v50, v6, v7                                  // 0000000073E0: 68640F06
	v_readlane_b32 s82, v3, 6                                  // 0000000073E4: D2890052 00010D03
	s_lshr_b32 s61, s82, 24                                    // 0000000073EC: 8F3D9852
	s_and_b32 s82, s82, 0xffffff                               // 0000000073F0: 8652FF52 00FFFFFF
	s_mul_i32 s82, s82, s71                                    // 0000000073F8: 92524752
	s_mul_i32 s61, s60, s61                                    // 0000000073FC: 923D3D3C
	s_add_u32 s82, s82, s61                                    // 000000007400: 80523D52
	v_mul_lo_u32 v6, v5, s82                                   // 000000007404: D2850006 0000A505
	v_readlane_b32 s82, v3, 7                                  // 00000000740C: D2890052 00010F03
	s_lshr_b32 s61, s82, 24                                    // 000000007414: 8F3D9852
	s_and_b32 s82, s82, 0xffffff                               // 000000007418: 8652FF52 00FFFFFF
	s_mul_i32 s82, s82, s71                                    // 000000007420: 92524752
	s_mul_i32 s61, s60, s61                                    // 000000007424: 923D3D3C
	s_add_u32 s82, s82, s61                                    // 000000007428: 80523D52
	v_mul_lo_u32 v7, v4, s82                                   // 00000000742C: D2850007 0000A504
	v_add_u32_e32 v51, v6, v7                                  // 000000007434: 68660F06
	v_readlane_b32 s82, v3, 8                                  // 000000007438: D2890052 00011103
	s_lshr_b32 s61, s82, 24                                    // 000000007440: 8F3D9852
	s_and_b32 s82, s82, 0xffffff                               // 000000007444: 8652FF52 00FFFFFF
	s_mul_i32 s82, s82, s71                                    // 00000000744C: 92524752
	s_mul_i32 s61, s60, s61                                    // 000000007450: 923D3D3C
	s_add_u32 s82, s82, s61                                    // 000000007454: 80523D52
	v_mul_lo_u32 v6, v5, s82                                   // 000000007458: D2850006 0000A505
	v_readlane_b32 s82, v3, 9                                  // 000000007460: D2890052 00011303
	s_lshr_b32 s61, s82, 24                                    // 000000007468: 8F3D9852
	s_and_b32 s82, s82, 0xffffff                               // 00000000746C: 8652FF52 00FFFFFF
	s_mul_i32 s82, s82, s71                                    // 000000007474: 92524752
	s_mul_i32 s61, s60, s61                                    // 000000007478: 923D3D3C
	s_add_u32 s82, s82, s61                                    // 00000000747C: 80523D52
	v_mul_lo_u32 v7, v4, s82                                   // 000000007480: D2850007 0000A504
	v_add_u32_e32 v52, v6, v7                                  // 000000007488: 68680F06
	v_readlane_b32 s82, v3, 10                                 // 00000000748C: D2890052 00011503
	s_lshr_b32 s61, s82, 24                                    // 000000007494: 8F3D9852
	s_and_b32 s82, s82, 0xffffff                               // 000000007498: 8652FF52 00FFFFFF
	s_mul_i32 s82, s82, s71                                    // 0000000074A0: 92524752
	s_mul_i32 s61, s60, s61                                    // 0000000074A4: 923D3D3C
	s_add_u32 s82, s82, s61                                    // 0000000074A8: 80523D52
	v_mul_lo_u32 v6, v5, s82                                   // 0000000074AC: D2850006 0000A505
	v_readlane_b32 s82, v3, 11                                 // 0000000074B4: D2890052 00011703
	s_lshr_b32 s61, s82, 24                                    // 0000000074BC: 8F3D9852
	s_and_b32 s82, s82, 0xffffff                               // 0000000074C0: 8652FF52 00FFFFFF
	s_mul_i32 s82, s82, s71                                    // 0000000074C8: 92524752
	s_mul_i32 s61, s60, s61                                    // 0000000074CC: 923D3D3C
	s_add_u32 s82, s82, s61                                    // 0000000074D0: 80523D52
	v_mul_lo_u32 v7, v4, s82                                   // 0000000074D4: D2850007 0000A504
	v_add_u32_e32 v53, v6, v7                                  // 0000000074DC: 686A0F06
	v_readlane_b32 s82, v3, 12                                 // 0000000074E0: D2890052 00011903
	s_lshr_b32 s61, s82, 24                                    // 0000000074E8: 8F3D9852
	s_and_b32 s82, s82, 0xffffff                               // 0000000074EC: 8652FF52 00FFFFFF
	s_mul_i32 s82, s82, s71                                    // 0000000074F4: 92524752
	s_mul_i32 s61, s60, s61                                    // 0000000074F8: 923D3D3C
	s_add_u32 s82, s82, s61                                    // 0000000074FC: 80523D52
	v_mul_lo_u32 v6, v5, s82                                   // 000000007500: D2850006 0000A505
	v_readlane_b32 s82, v3, 13                                 // 000000007508: D2890052 00011B03
	s_lshr_b32 s61, s82, 24                                    // 000000007510: 8F3D9852
	s_and_b32 s82, s82, 0xffffff                               // 000000007514: 8652FF52 00FFFFFF
	s_mul_i32 s82, s82, s71                                    // 00000000751C: 92524752
	s_mul_i32 s61, s60, s61                                    // 000000007520: 923D3D3C
	s_add_u32 s82, s82, s61                                    // 000000007524: 80523D52
	v_mul_lo_u32 v7, v4, s82                                   // 000000007528: D2850007 0000A504
	v_add_u32_e32 v54, v6, v7                                  // 000000007530: 686C0F06
	v_readlane_b32 s82, v3, 14                                 // 000000007534: D2890052 00011D03
	s_lshr_b32 s61, s82, 24                                    // 00000000753C: 8F3D9852
	s_and_b32 s82, s82, 0xffffff                               // 000000007540: 8652FF52 00FFFFFF
	s_mul_i32 s82, s82, s71                                    // 000000007548: 92524752
	s_mul_i32 s61, s60, s61                                    // 00000000754C: 923D3D3C
	s_add_u32 s82, s82, s61                                    // 000000007550: 80523D52
	v_mul_lo_u32 v6, v5, s82                                   // 000000007554: D2850006 0000A505
	v_readlane_b32 s82, v3, 15                                 // 00000000755C: D2890052 00011F03
	s_lshr_b32 s61, s82, 24                                    // 000000007564: 8F3D9852
	s_and_b32 s82, s82, 0xffffff                               // 000000007568: 8652FF52 00FFFFFF
	s_mul_i32 s82, s82, s71                                    // 000000007570: 92524752
	s_mul_i32 s61, s60, s61                                    // 000000007574: 923D3D3C
	s_add_u32 s82, s82, s61                                    // 000000007578: 80523D52
	v_mul_lo_u32 v7, v4, s82                                   // 00000000757C: D2850007 0000A504
	v_add_u32_e32 v55, v6, v7                                  // 000000007584: 686E0F06
	v_readlane_b32 s82, v3, 16                                 // 000000007588: D2890052 00012103
	s_lshr_b32 s61, s82, 24                                    // 000000007590: 8F3D9852
	s_and_b32 s82, s82, 0xffffff                               // 000000007594: 8652FF52 00FFFFFF
	s_mul_i32 s82, s82, s71                                    // 00000000759C: 92524752
	s_mul_i32 s61, s60, s61                                    // 0000000075A0: 923D3D3C
	s_add_u32 s82, s82, s61                                    // 0000000075A4: 80523D52
	v_mul_lo_u32 v6, v5, s82                                   // 0000000075A8: D2850006 0000A505
	v_readlane_b32 s82, v3, 17                                 // 0000000075B0: D2890052 00012303
	s_lshr_b32 s61, s82, 24                                    // 0000000075B8: 8F3D9852
	s_and_b32 s82, s82, 0xffffff                               // 0000000075BC: 8652FF52 00FFFFFF
	s_mul_i32 s82, s82, s71                                    // 0000000075C4: 92524752
	s_mul_i32 s61, s60, s61                                    // 0000000075C8: 923D3D3C
	s_add_u32 s82, s82, s61                                    // 0000000075CC: 80523D52
	v_mul_lo_u32 v7, v4, s82                                   // 0000000075D0: D2850007 0000A504
	v_add_u32_e32 v56, v6, v7                                  // 0000000075D8: 68700F06
	v_readlane_b32 s82, v3, 18                                 // 0000000075DC: D2890052 00012503
	s_lshr_b32 s61, s82, 24                                    // 0000000075E4: 8F3D9852
	s_and_b32 s82, s82, 0xffffff                               // 0000000075E8: 8652FF52 00FFFFFF
	s_mul_i32 s82, s82, s71                                    // 0000000075F0: 92524752
	s_mul_i32 s61, s60, s61                                    // 0000000075F4: 923D3D3C
	s_add_u32 s82, s82, s61                                    // 0000000075F8: 80523D52
	v_mul_lo_u32 v6, v5, s82                                   // 0000000075FC: D2850006 0000A505
	v_readlane_b32 s82, v3, 19                                 // 000000007604: D2890052 00012703
	s_lshr_b32 s61, s82, 24                                    // 00000000760C: 8F3D9852
	s_and_b32 s82, s82, 0xffffff                               // 000000007610: 8652FF52 00FFFFFF
	s_mul_i32 s82, s82, s71                                    // 000000007618: 92524752
	s_mul_i32 s61, s60, s61                                    // 00000000761C: 923D3D3C
	s_add_u32 s82, s82, s61                                    // 000000007620: 80523D52
	v_mul_lo_u32 v7, v4, s82                                   // 000000007624: D2850007 0000A504
	v_add_u32_e32 v57, v6, v7                                  // 00000000762C: 68720F06
	v_and_b32_e32 v4, 31, v0                                   // 000000007630: 2608009F
	v_lshrrev_b32_e32 v4, 1, v4                                // 000000007634: 20080881
	s_cmp_eq_u32 s88, 0                                        // 000000007638: BF068058
	s_cselect_b32 s61, 2, 4                                    // 00000000763C: 853D8482
	v_mul_lo_u32 v4, v4, s61                                   // 000000007640: D2850004 00007B04
	v_and_b32_e64 v5, v0, 1                                    // 000000007648: D1130005 00010300
	v_add_u32_e32 v4, v4, v5                                   // 000000007650: 68080B04
	v_lshlrev_b32_e32 v4, 2, v4                                // 000000007654: 24080882
	v_add_u32_e32 v48, v48, v4                                 // 000000007658: 68600930
	v_add_u32_e32 v49, v49, v4                                 // 00000000765C: 68620931
	v_add_u32_e32 v50, v50, v4                                 // 000000007660: 68640932
	v_add_u32_e32 v51, v51, v4                                 // 000000007664: 68660933
	;; [unrolled: 1-line block ×3, first 2 shown]
	v_add_u32_e32 v53, v53, v4                                 // 00000000766C: 686A0935
	v_add_u32_e32 v54, v54, v4                                 // 000000007670: 686C0936
	v_add_u32_e32 v55, v55, v4                                 // 000000007674: 686E0937
	v_add_u32_e32 v56, v56, v4                                 // 000000007678: 68700938
	v_add_u32_e32 v57, v57, v4                                 // 00000000767C: 68720939
	s_waitcnt lgkmcnt(0)                                       // 000000007680: BF8CC07F
	s_barrier                                                  // 000000007684: BF8A0000
	ds_read_b32 v60, v21                                       // 000000007688: D86C0000 3C000015
	ds_read_b32 v61, v21 offset:64                             // 000000007690: D86C0040 3D000015
	ds_read_b32 v64, v21 offset:2176                           // 000000007698: D86C0880 40000015
	ds_read_b32 v65, v21 offset:2240                           // 0000000076A0: D86C08C0 41000015
	ds_read_b32 v68, v21 offset:4352                           // 0000000076A8: D86C1100 44000015
	ds_read_b32 v69, v21 offset:4416                           // 0000000076B0: D86C1140 45000015
	ds_read_b32 v72, v21 offset:6528                           // 0000000076B8: D86C1980 48000015
	ds_read_b32 v73, v21 offset:6592                           // 0000000076C0: D86C19C0 49000015
	ds_read_b32 v76, v21 offset:8704                           // 0000000076C8: D86C2200 4C000015
	ds_read_b32 v77, v21 offset:8768                           // 0000000076D0: D86C2240 4D000015
	s_waitcnt lgkmcnt(0)                                       // 0000000076D8: BF8CC07F
	s_mov_b32 s36, -1                                          // 0000000076DC: BEA400C1
	s_mov_b32 s37, -1                                          // 0000000076E0: BEA500C1
	v_mov_b32_e32 v7, 0                                        // 0000000076E4: 7E0E0280
	s_mov_b64 exec, s[36:37]                                   // 0000000076E8: BEFE0124
	v_mov_b32_e32 v6, v48                                      // 0000000076EC: 7E0C0330
	s_mov_b64 s[60:61], 0                                      // 0000000076F0: BEBC0180
	v_readlane_b32 s82, v3, 0                                  // 0000000076F4: D2890052 00010103
	s_and_b32 s82, s82, 0xffffff                               // 0000000076FC: 8652FF52 00FFFFFF
	s_cmp_lt_u32 s82, s66                                      // 000000007704: BF0A4252
	s_cselect_b32 s20, s36, s60                                // 000000007708: 85143C24
	v_readlane_b32 s82, v3, 1                                  // 00000000770C: D2890052 00010303
	s_and_b32 s82, s82, 0xffffff                               // 000000007714: 8652FF52 00FFFFFF
	s_cmp_lt_u32 s82, s66                                      // 00000000771C: BF0A4252
	s_cselect_b32 s21, s36, s60                                // 000000007720: 85153C24
	s_mov_b64 exec, s[20:21]                                   // 000000007724: BEFE0114
	global_atomic_add_f32 v6, v60, s[8:9]                      // 000000007728: DD348000 00083C06
	s_mov_b64 exec, s[36:37]                                   // 000000007730: BEFE0124
	v_mov_b32_e32 v6, v49                                      // 000000007734: 7E0C0331
	s_mov_b64 s[60:61], 0                                      // 000000007738: BEBC0180
	v_readlane_b32 s82, v3, 2                                  // 00000000773C: D2890052 00010503
	s_and_b32 s82, s82, 0xffffff                               // 000000007744: 8652FF52 00FFFFFF
	s_cmp_lt_u32 s82, s66                                      // 00000000774C: BF0A4252
	s_cselect_b32 s20, s36, s60                                // 000000007750: 85143C24
	v_readlane_b32 s82, v3, 3                                  // 000000007754: D2890052 00010703
	s_and_b32 s82, s82, 0xffffff                               // 00000000775C: 8652FF52 00FFFFFF
	s_cmp_lt_u32 s82, s66                                      // 000000007764: BF0A4252
	s_cselect_b32 s21, s36, s60                                // 000000007768: 85153C24
	s_mov_b64 exec, s[20:21]                                   // 00000000776C: BEFE0114
	global_atomic_add_f32 v6, v61, s[8:9]                      // 000000007770: DD348000 00083D06
	s_mov_b64 exec, s[36:37]                                   // 000000007778: BEFE0124
	v_mov_b32_e32 v6, v50                                      // 00000000777C: 7E0C0332
	s_mov_b64 s[60:61], 0                                      // 000000007780: BEBC0180
	v_readlane_b32 s82, v3, 4                                  // 000000007784: D2890052 00010903
	s_and_b32 s82, s82, 0xffffff                               // 00000000778C: 8652FF52 00FFFFFF
	s_cmp_lt_u32 s82, s66                                      // 000000007794: BF0A4252
	s_cselect_b32 s20, s36, s60                                // 000000007798: 85143C24
	v_readlane_b32 s82, v3, 5                                  // 00000000779C: D2890052 00010B03
	s_and_b32 s82, s82, 0xffffff                               // 0000000077A4: 8652FF52 00FFFFFF
	s_cmp_lt_u32 s82, s66                                      // 0000000077AC: BF0A4252
	s_cselect_b32 s21, s36, s60                                // 0000000077B0: 85153C24
	s_mov_b64 exec, s[20:21]                                   // 0000000077B4: BEFE0114
	global_atomic_add_f32 v6, v64, s[8:9]                      // 0000000077B8: DD348000 00084006
	s_mov_b64 exec, s[36:37]                                   // 0000000077C0: BEFE0124
	v_mov_b32_e32 v6, v51                                      // 0000000077C4: 7E0C0333
	s_mov_b64 s[60:61], 0                                      // 0000000077C8: BEBC0180
	v_readlane_b32 s82, v3, 6                                  // 0000000077CC: D2890052 00010D03
	s_and_b32 s82, s82, 0xffffff                               // 0000000077D4: 8652FF52 00FFFFFF
	s_cmp_lt_u32 s82, s66                                      // 0000000077DC: BF0A4252
	s_cselect_b32 s20, s36, s60                                // 0000000077E0: 85143C24
	v_readlane_b32 s82, v3, 7                                  // 0000000077E4: D2890052 00010F03
	s_and_b32 s82, s82, 0xffffff                               // 0000000077EC: 8652FF52 00FFFFFF
	s_cmp_lt_u32 s82, s66                                      // 0000000077F4: BF0A4252
	s_cselect_b32 s21, s36, s60                                // 0000000077F8: 85153C24
	s_mov_b64 exec, s[20:21]                                   // 0000000077FC: BEFE0114
	global_atomic_add_f32 v6, v65, s[8:9]                      // 000000007800: DD348000 00084106
	s_mov_b64 exec, s[36:37]                                   // 000000007808: BEFE0124
	v_mov_b32_e32 v6, v52                                      // 00000000780C: 7E0C0334
	s_mov_b64 s[60:61], 0                                      // 000000007810: BEBC0180
	v_readlane_b32 s82, v3, 8                                  // 000000007814: D2890052 00011103
	s_and_b32 s82, s82, 0xffffff                               // 00000000781C: 8652FF52 00FFFFFF
	s_cmp_lt_u32 s82, s66                                      // 000000007824: BF0A4252
	s_cselect_b32 s20, s36, s60                                // 000000007828: 85143C24
	v_readlane_b32 s82, v3, 9                                  // 00000000782C: D2890052 00011303
	s_and_b32 s82, s82, 0xffffff                               // 000000007834: 8652FF52 00FFFFFF
	s_cmp_lt_u32 s82, s66                                      // 00000000783C: BF0A4252
	s_cselect_b32 s21, s36, s60                                // 000000007840: 85153C24
	s_mov_b64 exec, s[20:21]                                   // 000000007844: BEFE0114
	global_atomic_add_f32 v6, v68, s[8:9]                      // 000000007848: DD348000 00084406
	s_mov_b64 exec, s[36:37]                                   // 000000007850: BEFE0124
	v_mov_b32_e32 v6, v53                                      // 000000007854: 7E0C0335
	s_mov_b64 s[60:61], 0                                      // 000000007858: BEBC0180
	v_readlane_b32 s82, v3, 10                                 // 00000000785C: D2890052 00011503
	s_and_b32 s82, s82, 0xffffff                               // 000000007864: 8652FF52 00FFFFFF
	s_cmp_lt_u32 s82, s66                                      // 00000000786C: BF0A4252
	s_cselect_b32 s20, s36, s60                                // 000000007870: 85143C24
	v_readlane_b32 s82, v3, 11                                 // 000000007874: D2890052 00011703
	s_and_b32 s82, s82, 0xffffff                               // 00000000787C: 8652FF52 00FFFFFF
	s_cmp_lt_u32 s82, s66                                      // 000000007884: BF0A4252
	s_cselect_b32 s21, s36, s60                                // 000000007888: 85153C24
	s_mov_b64 exec, s[20:21]                                   // 00000000788C: BEFE0114
	global_atomic_add_f32 v6, v69, s[8:9]                      // 000000007890: DD348000 00084506
	s_mov_b64 exec, s[36:37]                                   // 000000007898: BEFE0124
	v_mov_b32_e32 v6, v54                                      // 00000000789C: 7E0C0336
	s_mov_b64 s[60:61], 0                                      // 0000000078A0: BEBC0180
	v_readlane_b32 s82, v3, 12                                 // 0000000078A4: D2890052 00011903
	s_and_b32 s82, s82, 0xffffff                               // 0000000078AC: 8652FF52 00FFFFFF
	s_cmp_lt_u32 s82, s66                                      // 0000000078B4: BF0A4252
	s_cselect_b32 s20, s36, s60                                // 0000000078B8: 85143C24
	v_readlane_b32 s82, v3, 13                                 // 0000000078BC: D2890052 00011B03
	s_and_b32 s82, s82, 0xffffff                               // 0000000078C4: 8652FF52 00FFFFFF
	s_cmp_lt_u32 s82, s66                                      // 0000000078CC: BF0A4252
	s_cselect_b32 s21, s36, s60                                // 0000000078D0: 85153C24
	s_mov_b64 exec, s[20:21]                                   // 0000000078D4: BEFE0114
	global_atomic_add_f32 v6, v72, s[8:9]                      // 0000000078D8: DD348000 00084806
	s_mov_b64 exec, s[36:37]                                   // 0000000078E0: BEFE0124
	v_mov_b32_e32 v6, v55                                      // 0000000078E4: 7E0C0337
	s_mov_b64 s[60:61], 0                                      // 0000000078E8: BEBC0180
	v_readlane_b32 s82, v3, 14                                 // 0000000078EC: D2890052 00011D03
	s_and_b32 s82, s82, 0xffffff                               // 0000000078F4: 8652FF52 00FFFFFF
	s_cmp_lt_u32 s82, s66                                      // 0000000078FC: BF0A4252
	s_cselect_b32 s20, s36, s60                                // 000000007900: 85143C24
	v_readlane_b32 s82, v3, 15                                 // 000000007904: D2890052 00011F03
	s_and_b32 s82, s82, 0xffffff                               // 00000000790C: 8652FF52 00FFFFFF
	s_cmp_lt_u32 s82, s66                                      // 000000007914: BF0A4252
	s_cselect_b32 s21, s36, s60                                // 000000007918: 85153C24
	s_mov_b64 exec, s[20:21]                                   // 00000000791C: BEFE0114
	global_atomic_add_f32 v6, v73, s[8:9]                      // 000000007920: DD348000 00084906
	s_mov_b64 exec, s[36:37]                                   // 000000007928: BEFE0124
	v_mov_b32_e32 v6, v56                                      // 00000000792C: 7E0C0338
	s_mov_b64 s[60:61], 0                                      // 000000007930: BEBC0180
	v_readlane_b32 s82, v3, 16                                 // 000000007934: D2890052 00012103
	s_and_b32 s82, s82, 0xffffff                               // 00000000793C: 8652FF52 00FFFFFF
	s_cmp_lt_u32 s82, s66                                      // 000000007944: BF0A4252
	s_cselect_b32 s20, s36, s60                                // 000000007948: 85143C24
	v_readlane_b32 s82, v3, 17                                 // 00000000794C: D2890052 00012303
	s_and_b32 s82, s82, 0xffffff                               // 000000007954: 8652FF52 00FFFFFF
	s_cmp_lt_u32 s82, s66                                      // 00000000795C: BF0A4252
	s_cselect_b32 s21, s36, s60                                // 000000007960: 85153C24
	s_mov_b64 exec, s[20:21]                                   // 000000007964: BEFE0114
	global_atomic_add_f32 v6, v76, s[8:9]                      // 000000007968: DD348000 00084C06
	s_mov_b64 exec, s[36:37]                                   // 000000007970: BEFE0124
	v_mov_b32_e32 v6, v57                                      // 000000007974: 7E0C0339
	s_mov_b64 s[60:61], 0                                      // 000000007978: BEBC0180
	v_readlane_b32 s82, v3, 18                                 // 00000000797C: D2890052 00012503
	s_and_b32 s82, s82, 0xffffff                               // 000000007984: 8652FF52 00FFFFFF
	s_cmp_lt_u32 s82, s66                                      // 00000000798C: BF0A4252
	s_cselect_b32 s20, s36, s60                                // 000000007990: 85143C24
	v_readlane_b32 s82, v3, 19                                 // 000000007994: D2890052 00012703
	s_and_b32 s82, s82, 0xffffff                               // 00000000799C: 8652FF52 00FFFFFF
	s_cmp_lt_u32 s82, s66                                      // 0000000079A4: BF0A4252
	s_cselect_b32 s21, s36, s60                                // 0000000079A8: 85153C24
	s_mov_b64 exec, s[20:21]                                   // 0000000079AC: BEFE0114
	global_atomic_add_f32 v6, v77, s[8:9]                      // 0000000079B0: DD348000 00084D06
	s_mov_b64 exec, s[36:37]                                   // 0000000079B8: BEFE0124
	ds_write_b64 v20, v[62:63]                                 // 0000000079BC: D89A0000 00003E14
	ds_write_b64 v20, v[66:67] offset:2176                     // 0000000079C4: D89A0880 00004214
	ds_write_b64 v20, v[70:71] offset:4352                     // 0000000079CC: D89A1100 00004614
	ds_write_b64 v20, v[74:75] offset:6528                     // 0000000079D4: D89A1980 00004A14
	ds_write_b64 v20, v[78:79] offset:8704                     // 0000000079DC: D89A2200 00004E14
	s_waitcnt lgkmcnt(0)                                       // 0000000079E4: BF8CC07F
	s_barrier                                                  // 0000000079E8: BF8A0000
	ds_read_b32 v62, v21                                       // 0000000079EC: D86C0000 3E000015
	ds_read_b32 v63, v21 offset:64                             // 0000000079F4: D86C0040 3F000015
	ds_read_b32 v66, v21 offset:2176                           // 0000000079FC: D86C0880 42000015
	ds_read_b32 v67, v21 offset:2240                           // 000000007A04: D86C08C0 43000015
	ds_read_b32 v70, v21 offset:4352                           // 000000007A0C: D86C1100 46000015
	ds_read_b32 v71, v21 offset:4416                           // 000000007A14: D86C1140 47000015
	ds_read_b32 v74, v21 offset:6528                           // 000000007A1C: D86C1980 4A000015
	ds_read_b32 v75, v21 offset:6592                           // 000000007A24: D86C19C0 4B000015
	ds_read_b32 v78, v21 offset:8704                           // 000000007A2C: D86C2200 4E000015
	ds_read_b32 v79, v21 offset:8768                           // 000000007A34: D86C2240 4F000015
	s_waitcnt lgkmcnt(0)                                       // 000000007A3C: BF8CC07F
	v_mov_b32_e32 v7, 0                                        // 000000007A40: 7E0E0280
	s_mov_b64 exec, s[36:37]                                   // 000000007A44: BEFE0124
	v_mov_b32_e32 v6, v48                                      // 000000007A48: 7E0C0330
	s_mov_b64 s[60:61], 0                                      // 000000007A4C: BEBC0180
	v_readlane_b32 s82, v3, 0                                  // 000000007A50: D2890052 00010103
	s_and_b32 s82, s82, 0xffffff                               // 000000007A58: 8652FF52 00FFFFFF
	s_cmp_lt_u32 s82, s66                                      // 000000007A60: BF0A4252
	s_cselect_b32 s20, s36, s60                                // 000000007A64: 85143C24
	v_readlane_b32 s82, v3, 1                                  // 000000007A68: D2890052 00010303
	s_and_b32 s82, s82, 0xffffff                               // 000000007A70: 8652FF52 00FFFFFF
	s_cmp_lt_u32 s82, s66                                      // 000000007A78: BF0A4252
	s_cselect_b32 s21, s36, s60                                // 000000007A7C: 85153C24
	s_mov_b64 exec, s[20:21]                                   // 000000007A80: BEFE0114
	global_atomic_add_f32 v6, v62, s[8:9] offset:8             // 000000007A84: DD348008 00083E06
	s_mov_b64 exec, s[36:37]                                   // 000000007A8C: BEFE0124
	v_mov_b32_e32 v6, v49                                      // 000000007A90: 7E0C0331
	s_mov_b64 s[60:61], 0                                      // 000000007A94: BEBC0180
	v_readlane_b32 s82, v3, 2                                  // 000000007A98: D2890052 00010503
	s_and_b32 s82, s82, 0xffffff                               // 000000007AA0: 8652FF52 00FFFFFF
	s_cmp_lt_u32 s82, s66                                      // 000000007AA8: BF0A4252
	s_cselect_b32 s20, s36, s60                                // 000000007AAC: 85143C24
	v_readlane_b32 s82, v3, 3                                  // 000000007AB0: D2890052 00010703
	s_and_b32 s82, s82, 0xffffff                               // 000000007AB8: 8652FF52 00FFFFFF
	s_cmp_lt_u32 s82, s66                                      // 000000007AC0: BF0A4252
	s_cselect_b32 s21, s36, s60                                // 000000007AC4: 85153C24
	s_mov_b64 exec, s[20:21]                                   // 000000007AC8: BEFE0114
	global_atomic_add_f32 v6, v63, s[8:9] offset:8             // 000000007ACC: DD348008 00083F06
	s_mov_b64 exec, s[36:37]                                   // 000000007AD4: BEFE0124
	v_mov_b32_e32 v6, v50                                      // 000000007AD8: 7E0C0332
	s_mov_b64 s[60:61], 0                                      // 000000007ADC: BEBC0180
	v_readlane_b32 s82, v3, 4                                  // 000000007AE0: D2890052 00010903
	s_and_b32 s82, s82, 0xffffff                               // 000000007AE8: 8652FF52 00FFFFFF
	s_cmp_lt_u32 s82, s66                                      // 000000007AF0: BF0A4252
	s_cselect_b32 s20, s36, s60                                // 000000007AF4: 85143C24
	v_readlane_b32 s82, v3, 5                                  // 000000007AF8: D2890052 00010B03
	s_and_b32 s82, s82, 0xffffff                               // 000000007B00: 8652FF52 00FFFFFF
	s_cmp_lt_u32 s82, s66                                      // 000000007B08: BF0A4252
	s_cselect_b32 s21, s36, s60                                // 000000007B0C: 85153C24
	s_mov_b64 exec, s[20:21]                                   // 000000007B10: BEFE0114
	global_atomic_add_f32 v6, v66, s[8:9] offset:8             // 000000007B14: DD348008 00084206
	s_mov_b64 exec, s[36:37]                                   // 000000007B1C: BEFE0124
	v_mov_b32_e32 v6, v51                                      // 000000007B20: 7E0C0333
	s_mov_b64 s[60:61], 0                                      // 000000007B24: BEBC0180
	v_readlane_b32 s82, v3, 6                                  // 000000007B28: D2890052 00010D03
	s_and_b32 s82, s82, 0xffffff                               // 000000007B30: 8652FF52 00FFFFFF
	s_cmp_lt_u32 s82, s66                                      // 000000007B38: BF0A4252
	s_cselect_b32 s20, s36, s60                                // 000000007B3C: 85143C24
	v_readlane_b32 s82, v3, 7                                  // 000000007B40: D2890052 00010F03
	s_and_b32 s82, s82, 0xffffff                               // 000000007B48: 8652FF52 00FFFFFF
	s_cmp_lt_u32 s82, s66                                      // 000000007B50: BF0A4252
	s_cselect_b32 s21, s36, s60                                // 000000007B54: 85153C24
	s_mov_b64 exec, s[20:21]                                   // 000000007B58: BEFE0114
	global_atomic_add_f32 v6, v67, s[8:9] offset:8             // 000000007B5C: DD348008 00084306
	s_mov_b64 exec, s[36:37]                                   // 000000007B64: BEFE0124
	v_mov_b32_e32 v6, v52                                      // 000000007B68: 7E0C0334
	s_mov_b64 s[60:61], 0                                      // 000000007B6C: BEBC0180
	v_readlane_b32 s82, v3, 8                                  // 000000007B70: D2890052 00011103
	s_and_b32 s82, s82, 0xffffff                               // 000000007B78: 8652FF52 00FFFFFF
	s_cmp_lt_u32 s82, s66                                      // 000000007B80: BF0A4252
	s_cselect_b32 s20, s36, s60                                // 000000007B84: 85143C24
	v_readlane_b32 s82, v3, 9                                  // 000000007B88: D2890052 00011303
	s_and_b32 s82, s82, 0xffffff                               // 000000007B90: 8652FF52 00FFFFFF
	s_cmp_lt_u32 s82, s66                                      // 000000007B98: BF0A4252
	s_cselect_b32 s21, s36, s60                                // 000000007B9C: 85153C24
	s_mov_b64 exec, s[20:21]                                   // 000000007BA0: BEFE0114
	global_atomic_add_f32 v6, v70, s[8:9] offset:8             // 000000007BA4: DD348008 00084606
	s_mov_b64 exec, s[36:37]                                   // 000000007BAC: BEFE0124
	v_mov_b32_e32 v6, v53                                      // 000000007BB0: 7E0C0335
	s_mov_b64 s[60:61], 0                                      // 000000007BB4: BEBC0180
	v_readlane_b32 s82, v3, 10                                 // 000000007BB8: D2890052 00011503
	s_and_b32 s82, s82, 0xffffff                               // 000000007BC0: 8652FF52 00FFFFFF
	s_cmp_lt_u32 s82, s66                                      // 000000007BC8: BF0A4252
	s_cselect_b32 s20, s36, s60                                // 000000007BCC: 85143C24
	v_readlane_b32 s82, v3, 11                                 // 000000007BD0: D2890052 00011703
	s_and_b32 s82, s82, 0xffffff                               // 000000007BD8: 8652FF52 00FFFFFF
	s_cmp_lt_u32 s82, s66                                      // 000000007BE0: BF0A4252
	s_cselect_b32 s21, s36, s60                                // 000000007BE4: 85153C24
	s_mov_b64 exec, s[20:21]                                   // 000000007BE8: BEFE0114
	global_atomic_add_f32 v6, v71, s[8:9] offset:8             // 000000007BEC: DD348008 00084706
	s_mov_b64 exec, s[36:37]                                   // 000000007BF4: BEFE0124
	v_mov_b32_e32 v6, v54                                      // 000000007BF8: 7E0C0336
	s_mov_b64 s[60:61], 0                                      // 000000007BFC: BEBC0180
	v_readlane_b32 s82, v3, 12                                 // 000000007C00: D2890052 00011903
	s_and_b32 s82, s82, 0xffffff                               // 000000007C08: 8652FF52 00FFFFFF
	s_cmp_lt_u32 s82, s66                                      // 000000007C10: BF0A4252
	s_cselect_b32 s20, s36, s60                                // 000000007C14: 85143C24
	v_readlane_b32 s82, v3, 13                                 // 000000007C18: D2890052 00011B03
	s_and_b32 s82, s82, 0xffffff                               // 000000007C20: 8652FF52 00FFFFFF
	s_cmp_lt_u32 s82, s66                                      // 000000007C28: BF0A4252
	s_cselect_b32 s21, s36, s60                                // 000000007C2C: 85153C24
	s_mov_b64 exec, s[20:21]                                   // 000000007C30: BEFE0114
	global_atomic_add_f32 v6, v74, s[8:9] offset:8             // 000000007C34: DD348008 00084A06
	s_mov_b64 exec, s[36:37]                                   // 000000007C3C: BEFE0124
	v_mov_b32_e32 v6, v55                                      // 000000007C40: 7E0C0337
	s_mov_b64 s[60:61], 0                                      // 000000007C44: BEBC0180
	v_readlane_b32 s82, v3, 14                                 // 000000007C48: D2890052 00011D03
	s_and_b32 s82, s82, 0xffffff                               // 000000007C50: 8652FF52 00FFFFFF
	s_cmp_lt_u32 s82, s66                                      // 000000007C58: BF0A4252
	s_cselect_b32 s20, s36, s60                                // 000000007C5C: 85143C24
	v_readlane_b32 s82, v3, 15                                 // 000000007C60: D2890052 00011F03
	s_and_b32 s82, s82, 0xffffff                               // 000000007C68: 8652FF52 00FFFFFF
	s_cmp_lt_u32 s82, s66                                      // 000000007C70: BF0A4252
	s_cselect_b32 s21, s36, s60                                // 000000007C74: 85153C24
	s_mov_b64 exec, s[20:21]                                   // 000000007C78: BEFE0114
	global_atomic_add_f32 v6, v75, s[8:9] offset:8             // 000000007C7C: DD348008 00084B06
	s_mov_b64 exec, s[36:37]                                   // 000000007C84: BEFE0124
	v_mov_b32_e32 v6, v56                                      // 000000007C88: 7E0C0338
	s_mov_b64 s[60:61], 0                                      // 000000007C8C: BEBC0180
	v_readlane_b32 s82, v3, 16                                 // 000000007C90: D2890052 00012103
	s_and_b32 s82, s82, 0xffffff                               // 000000007C98: 8652FF52 00FFFFFF
	s_cmp_lt_u32 s82, s66                                      // 000000007CA0: BF0A4252
	s_cselect_b32 s20, s36, s60                                // 000000007CA4: 85143C24
	v_readlane_b32 s82, v3, 17                                 // 000000007CA8: D2890052 00012303
	s_and_b32 s82, s82, 0xffffff                               // 000000007CB0: 8652FF52 00FFFFFF
	s_cmp_lt_u32 s82, s66                                      // 000000007CB8: BF0A4252
	s_cselect_b32 s21, s36, s60                                // 000000007CBC: 85153C24
	s_mov_b64 exec, s[20:21]                                   // 000000007CC0: BEFE0114
	global_atomic_add_f32 v6, v78, s[8:9] offset:8             // 000000007CC4: DD348008 00084E06
	s_mov_b64 exec, s[36:37]                                   // 000000007CCC: BEFE0124
	v_mov_b32_e32 v6, v57                                      // 000000007CD0: 7E0C0339
	s_mov_b64 s[60:61], 0                                      // 000000007CD4: BEBC0180
	v_readlane_b32 s82, v3, 18                                 // 000000007CD8: D2890052 00012503
	s_and_b32 s82, s82, 0xffffff                               // 000000007CE0: 8652FF52 00FFFFFF
	s_cmp_lt_u32 s82, s66                                      // 000000007CE8: BF0A4252
	s_cselect_b32 s20, s36, s60                                // 000000007CEC: 85143C24
	v_readlane_b32 s82, v3, 19                                 // 000000007CF0: D2890052 00012703
	s_and_b32 s82, s82, 0xffffff                               // 000000007CF8: 8652FF52 00FFFFFF
	s_cmp_lt_u32 s82, s66                                      // 000000007D00: BF0A4252
	s_cselect_b32 s21, s36, s60                                // 000000007D04: 85153C24
	s_mov_b64 exec, s[20:21]                                   // 000000007D08: BEFE0114
	global_atomic_add_f32 v6, v79, s[8:9] offset:8             // 000000007D0C: DD348008 00084F06
	s_mov_b64 exec, s[36:37]                                   // 000000007D14: BEFE0124
	ds_write_b64 v20, v[80:81]                                 // 000000007D18: D89A0000 00005014
	ds_write_b64 v20, v[84:85] offset:2176                     // 000000007D20: D89A0880 00005414
	ds_write_b64 v20, v[88:89] offset:4352                     // 000000007D28: D89A1100 00005814
	ds_write_b64 v20, v[92:93] offset:6528                     // 000000007D30: D89A1980 00005C14
	ds_write_b64 v20, v[96:97] offset:8704                     // 000000007D38: D89A2200 00006014
	s_waitcnt lgkmcnt(0)                                       // 000000007D40: BF8CC07F
	s_barrier                                                  // 000000007D44: BF8A0000
	ds_read_b32 v80, v21                                       // 000000007D48: D86C0000 50000015
	ds_read_b32 v81, v21 offset:64                             // 000000007D50: D86C0040 51000015
	ds_read_b32 v84, v21 offset:2176                           // 000000007D58: D86C0880 54000015
	ds_read_b32 v85, v21 offset:2240                           // 000000007D60: D86C08C0 55000015
	ds_read_b32 v88, v21 offset:4352                           // 000000007D68: D86C1100 58000015
	ds_read_b32 v89, v21 offset:4416                           // 000000007D70: D86C1140 59000015
	ds_read_b32 v92, v21 offset:6528                           // 000000007D78: D86C1980 5C000015
	ds_read_b32 v93, v21 offset:6592                           // 000000007D80: D86C19C0 5D000015
	ds_read_b32 v96, v21 offset:8704                           // 000000007D88: D86C2200 60000015
	ds_read_b32 v97, v21 offset:8768                           // 000000007D90: D86C2240 61000015
	s_mul_i32 s60, s65, 4                                      // 000000007D98: 923C8441
	s_add_u32 s8, s60, s8                                      // 000000007D9C: 8008083C
	s_addc_u32 s9, 0, s9                                       // 000000007DA0: 82090980
	s_waitcnt lgkmcnt(0)                                       // 000000007DA4: BF8CC07F
	v_mov_b32_e32 v7, 0                                        // 000000007DA8: 7E0E0280
	s_mov_b64 exec, s[36:37]                                   // 000000007DAC: BEFE0124
	v_mov_b32_e32 v6, v48                                      // 000000007DB0: 7E0C0330
	s_mov_b64 s[60:61], 0                                      // 000000007DB4: BEBC0180
	v_readlane_b32 s82, v3, 0                                  // 000000007DB8: D2890052 00010103
	s_and_b32 s82, s82, 0xffffff                               // 000000007DC0: 8652FF52 00FFFFFF
	s_cmp_lt_u32 s82, s66                                      // 000000007DC8: BF0A4252
	s_cselect_b32 s20, s36, s60                                // 000000007DCC: 85143C24
	v_readlane_b32 s82, v3, 1                                  // 000000007DD0: D2890052 00010303
	s_and_b32 s82, s82, 0xffffff                               // 000000007DD8: 8652FF52 00FFFFFF
	s_cmp_lt_u32 s82, s66                                      // 000000007DE0: BF0A4252
	s_cselect_b32 s21, s36, s60                                // 000000007DE4: 85153C24
	s_mov_b64 exec, s[20:21]                                   // 000000007DE8: BEFE0114
	global_atomic_add_f32 v6, v80, s[8:9]                      // 000000007DEC: DD348000 00085006
	s_mov_b64 exec, s[36:37]                                   // 000000007DF4: BEFE0124
	v_mov_b32_e32 v6, v49                                      // 000000007DF8: 7E0C0331
	s_mov_b64 s[60:61], 0                                      // 000000007DFC: BEBC0180
	v_readlane_b32 s82, v3, 2                                  // 000000007E00: D2890052 00010503
	s_and_b32 s82, s82, 0xffffff                               // 000000007E08: 8652FF52 00FFFFFF
	s_cmp_lt_u32 s82, s66                                      // 000000007E10: BF0A4252
	s_cselect_b32 s20, s36, s60                                // 000000007E14: 85143C24
	v_readlane_b32 s82, v3, 3                                  // 000000007E18: D2890052 00010703
	s_and_b32 s82, s82, 0xffffff                               // 000000007E20: 8652FF52 00FFFFFF
	s_cmp_lt_u32 s82, s66                                      // 000000007E28: BF0A4252
	s_cselect_b32 s21, s36, s60                                // 000000007E2C: 85153C24
	s_mov_b64 exec, s[20:21]                                   // 000000007E30: BEFE0114
	global_atomic_add_f32 v6, v81, s[8:9]                      // 000000007E34: DD348000 00085106
	s_mov_b64 exec, s[36:37]                                   // 000000007E3C: BEFE0124
	v_mov_b32_e32 v6, v50                                      // 000000007E40: 7E0C0332
	s_mov_b64 s[60:61], 0                                      // 000000007E44: BEBC0180
	v_readlane_b32 s82, v3, 4                                  // 000000007E48: D2890052 00010903
	s_and_b32 s82, s82, 0xffffff                               // 000000007E50: 8652FF52 00FFFFFF
	s_cmp_lt_u32 s82, s66                                      // 000000007E58: BF0A4252
	s_cselect_b32 s20, s36, s60                                // 000000007E5C: 85143C24
	v_readlane_b32 s82, v3, 5                                  // 000000007E60: D2890052 00010B03
	s_and_b32 s82, s82, 0xffffff                               // 000000007E68: 8652FF52 00FFFFFF
	s_cmp_lt_u32 s82, s66                                      // 000000007E70: BF0A4252
	s_cselect_b32 s21, s36, s60                                // 000000007E74: 85153C24
	s_mov_b64 exec, s[20:21]                                   // 000000007E78: BEFE0114
	global_atomic_add_f32 v6, v84, s[8:9]                      // 000000007E7C: DD348000 00085406
	s_mov_b64 exec, s[36:37]                                   // 000000007E84: BEFE0124
	v_mov_b32_e32 v6, v51                                      // 000000007E88: 7E0C0333
	s_mov_b64 s[60:61], 0                                      // 000000007E8C: BEBC0180
	v_readlane_b32 s82, v3, 6                                  // 000000007E90: D2890052 00010D03
	s_and_b32 s82, s82, 0xffffff                               // 000000007E98: 8652FF52 00FFFFFF
	s_cmp_lt_u32 s82, s66                                      // 000000007EA0: BF0A4252
	s_cselect_b32 s20, s36, s60                                // 000000007EA4: 85143C24
	v_readlane_b32 s82, v3, 7                                  // 000000007EA8: D2890052 00010F03
	s_and_b32 s82, s82, 0xffffff                               // 000000007EB0: 8652FF52 00FFFFFF
	s_cmp_lt_u32 s82, s66                                      // 000000007EB8: BF0A4252
	s_cselect_b32 s21, s36, s60                                // 000000007EBC: 85153C24
	s_mov_b64 exec, s[20:21]                                   // 000000007EC0: BEFE0114
	global_atomic_add_f32 v6, v85, s[8:9]                      // 000000007EC4: DD348000 00085506
	s_mov_b64 exec, s[36:37]                                   // 000000007ECC: BEFE0124
	v_mov_b32_e32 v6, v52                                      // 000000007ED0: 7E0C0334
	s_mov_b64 s[60:61], 0                                      // 000000007ED4: BEBC0180
	v_readlane_b32 s82, v3, 8                                  // 000000007ED8: D2890052 00011103
	s_and_b32 s82, s82, 0xffffff                               // 000000007EE0: 8652FF52 00FFFFFF
	s_cmp_lt_u32 s82, s66                                      // 000000007EE8: BF0A4252
	s_cselect_b32 s20, s36, s60                                // 000000007EEC: 85143C24
	v_readlane_b32 s82, v3, 9                                  // 000000007EF0: D2890052 00011303
	s_and_b32 s82, s82, 0xffffff                               // 000000007EF8: 8652FF52 00FFFFFF
	s_cmp_lt_u32 s82, s66                                      // 000000007F00: BF0A4252
	s_cselect_b32 s21, s36, s60                                // 000000007F04: 85153C24
	s_mov_b64 exec, s[20:21]                                   // 000000007F08: BEFE0114
	global_atomic_add_f32 v6, v88, s[8:9]                      // 000000007F0C: DD348000 00085806
	s_mov_b64 exec, s[36:37]                                   // 000000007F14: BEFE0124
	v_mov_b32_e32 v6, v53                                      // 000000007F18: 7E0C0335
	s_mov_b64 s[60:61], 0                                      // 000000007F1C: BEBC0180
	v_readlane_b32 s82, v3, 10                                 // 000000007F20: D2890052 00011503
	s_and_b32 s82, s82, 0xffffff                               // 000000007F28: 8652FF52 00FFFFFF
	s_cmp_lt_u32 s82, s66                                      // 000000007F30: BF0A4252
	s_cselect_b32 s20, s36, s60                                // 000000007F34: 85143C24
	v_readlane_b32 s82, v3, 11                                 // 000000007F38: D2890052 00011703
	s_and_b32 s82, s82, 0xffffff                               // 000000007F40: 8652FF52 00FFFFFF
	s_cmp_lt_u32 s82, s66                                      // 000000007F48: BF0A4252
	s_cselect_b32 s21, s36, s60                                // 000000007F4C: 85153C24
	s_mov_b64 exec, s[20:21]                                   // 000000007F50: BEFE0114
	global_atomic_add_f32 v6, v89, s[8:9]                      // 000000007F54: DD348000 00085906
	s_mov_b64 exec, s[36:37]                                   // 000000007F5C: BEFE0124
	v_mov_b32_e32 v6, v54                                      // 000000007F60: 7E0C0336
	s_mov_b64 s[60:61], 0                                      // 000000007F64: BEBC0180
	v_readlane_b32 s82, v3, 12                                 // 000000007F68: D2890052 00011903
	s_and_b32 s82, s82, 0xffffff                               // 000000007F70: 8652FF52 00FFFFFF
	s_cmp_lt_u32 s82, s66                                      // 000000007F78: BF0A4252
	s_cselect_b32 s20, s36, s60                                // 000000007F7C: 85143C24
	v_readlane_b32 s82, v3, 13                                 // 000000007F80: D2890052 00011B03
	s_and_b32 s82, s82, 0xffffff                               // 000000007F88: 8652FF52 00FFFFFF
	s_cmp_lt_u32 s82, s66                                      // 000000007F90: BF0A4252
	s_cselect_b32 s21, s36, s60                                // 000000007F94: 85153C24
	s_mov_b64 exec, s[20:21]                                   // 000000007F98: BEFE0114
	global_atomic_add_f32 v6, v92, s[8:9]                      // 000000007F9C: DD348000 00085C06
	s_mov_b64 exec, s[36:37]                                   // 000000007FA4: BEFE0124
	v_mov_b32_e32 v6, v55                                      // 000000007FA8: 7E0C0337
	s_mov_b64 s[60:61], 0                                      // 000000007FAC: BEBC0180
	v_readlane_b32 s82, v3, 14                                 // 000000007FB0: D2890052 00011D03
	s_and_b32 s82, s82, 0xffffff                               // 000000007FB8: 8652FF52 00FFFFFF
	s_cmp_lt_u32 s82, s66                                      // 000000007FC0: BF0A4252
	s_cselect_b32 s20, s36, s60                                // 000000007FC4: 85143C24
	v_readlane_b32 s82, v3, 15                                 // 000000007FC8: D2890052 00011F03
	s_and_b32 s82, s82, 0xffffff                               // 000000007FD0: 8652FF52 00FFFFFF
	s_cmp_lt_u32 s82, s66                                      // 000000007FD8: BF0A4252
	s_cselect_b32 s21, s36, s60                                // 000000007FDC: 85153C24
	s_mov_b64 exec, s[20:21]                                   // 000000007FE0: BEFE0114
	global_atomic_add_f32 v6, v93, s[8:9]                      // 000000007FE4: DD348000 00085D06
	s_mov_b64 exec, s[36:37]                                   // 000000007FEC: BEFE0124
	v_mov_b32_e32 v6, v56                                      // 000000007FF0: 7E0C0338
	s_mov_b64 s[60:61], 0                                      // 000000007FF4: BEBC0180
	v_readlane_b32 s82, v3, 16                                 // 000000007FF8: D2890052 00012103
	s_and_b32 s82, s82, 0xffffff                               // 000000008000: 8652FF52 00FFFFFF
	s_cmp_lt_u32 s82, s66                                      // 000000008008: BF0A4252
	s_cselect_b32 s20, s36, s60                                // 00000000800C: 85143C24
	v_readlane_b32 s82, v3, 17                                 // 000000008010: D2890052 00012303
	s_and_b32 s82, s82, 0xffffff                               // 000000008018: 8652FF52 00FFFFFF
	s_cmp_lt_u32 s82, s66                                      // 000000008020: BF0A4252
	s_cselect_b32 s21, s36, s60                                // 000000008024: 85153C24
	s_mov_b64 exec, s[20:21]                                   // 000000008028: BEFE0114
	global_atomic_add_f32 v6, v96, s[8:9]                      // 00000000802C: DD348000 00086006
	s_mov_b64 exec, s[36:37]                                   // 000000008034: BEFE0124
	v_mov_b32_e32 v6, v57                                      // 000000008038: 7E0C0339
	s_mov_b64 s[60:61], 0                                      // 00000000803C: BEBC0180
	v_readlane_b32 s82, v3, 18                                 // 000000008040: D2890052 00012503
	s_and_b32 s82, s82, 0xffffff                               // 000000008048: 8652FF52 00FFFFFF
	s_cmp_lt_u32 s82, s66                                      // 000000008050: BF0A4252
	s_cselect_b32 s20, s36, s60                                // 000000008054: 85143C24
	v_readlane_b32 s82, v3, 19                                 // 000000008058: D2890052 00012703
	s_and_b32 s82, s82, 0xffffff                               // 000000008060: 8652FF52 00FFFFFF
	s_cmp_lt_u32 s82, s66                                      // 000000008068: BF0A4252
	s_cselect_b32 s21, s36, s60                                // 00000000806C: 85153C24
	s_mov_b64 exec, s[20:21]                                   // 000000008070: BEFE0114
	global_atomic_add_f32 v6, v97, s[8:9]                      // 000000008074: DD348000 00086106
	s_mov_b64 exec, s[36:37]                                   // 00000000807C: BEFE0124
	ds_write_b64 v20, v[82:83]                                 // 000000008080: D89A0000 00005214
	ds_write_b64 v20, v[86:87] offset:2176                     // 000000008088: D89A0880 00005614
	ds_write_b64 v20, v[90:91] offset:4352                     // 000000008090: D89A1100 00005A14
	ds_write_b64 v20, v[94:95] offset:6528                     // 000000008098: D89A1980 00005E14
	ds_write_b64 v20, v[98:99] offset:8704                     // 0000000080A0: D89A2200 00006214
	s_waitcnt lgkmcnt(0)                                       // 0000000080A8: BF8CC07F
	s_barrier                                                  // 0000000080AC: BF8A0000
	ds_read_b32 v82, v21                                       // 0000000080B0: D86C0000 52000015
	ds_read_b32 v83, v21 offset:64                             // 0000000080B8: D86C0040 53000015
	ds_read_b32 v86, v21 offset:2176                           // 0000000080C0: D86C0880 56000015
	ds_read_b32 v87, v21 offset:2240                           // 0000000080C8: D86C08C0 57000015
	ds_read_b32 v90, v21 offset:4352                           // 0000000080D0: D86C1100 5A000015
	ds_read_b32 v91, v21 offset:4416                           // 0000000080D8: D86C1140 5B000015
	ds_read_b32 v94, v21 offset:6528                           // 0000000080E0: D86C1980 5E000015
	ds_read_b32 v95, v21 offset:6592                           // 0000000080E8: D86C19C0 5F000015
	ds_read_b32 v98, v21 offset:8704                           // 0000000080F0: D86C2200 62000015
	ds_read_b32 v99, v21 offset:8768                           // 0000000080F8: D86C2240 63000015
	s_waitcnt lgkmcnt(0)                                       // 000000008100: BF8CC07F
	v_mov_b32_e32 v7, 0                                        // 000000008104: 7E0E0280
	s_mov_b64 exec, s[36:37]                                   // 000000008108: BEFE0124
	v_mov_b32_e32 v6, v48                                      // 00000000810C: 7E0C0330
	s_mov_b64 s[60:61], 0                                      // 000000008110: BEBC0180
	v_readlane_b32 s82, v3, 0                                  // 000000008114: D2890052 00010103
	s_and_b32 s82, s82, 0xffffff                               // 00000000811C: 8652FF52 00FFFFFF
	s_cmp_lt_u32 s82, s66                                      // 000000008124: BF0A4252
	s_cselect_b32 s20, s36, s60                                // 000000008128: 85143C24
	v_readlane_b32 s82, v3, 1                                  // 00000000812C: D2890052 00010303
	s_and_b32 s82, s82, 0xffffff                               // 000000008134: 8652FF52 00FFFFFF
	s_cmp_lt_u32 s82, s66                                      // 00000000813C: BF0A4252
	s_cselect_b32 s21, s36, s60                                // 000000008140: 85153C24
	s_mov_b64 exec, s[20:21]                                   // 000000008144: BEFE0114
	global_atomic_add_f32 v6, v82, s[8:9] offset:8             // 000000008148: DD348008 00085206
	s_mov_b64 exec, s[36:37]                                   // 000000008150: BEFE0124
	v_mov_b32_e32 v6, v49                                      // 000000008154: 7E0C0331
	s_mov_b64 s[60:61], 0                                      // 000000008158: BEBC0180
	v_readlane_b32 s82, v3, 2                                  // 00000000815C: D2890052 00010503
	s_and_b32 s82, s82, 0xffffff                               // 000000008164: 8652FF52 00FFFFFF
	s_cmp_lt_u32 s82, s66                                      // 00000000816C: BF0A4252
	s_cselect_b32 s20, s36, s60                                // 000000008170: 85143C24
	v_readlane_b32 s82, v3, 3                                  // 000000008174: D2890052 00010703
	s_and_b32 s82, s82, 0xffffff                               // 00000000817C: 8652FF52 00FFFFFF
	s_cmp_lt_u32 s82, s66                                      // 000000008184: BF0A4252
	s_cselect_b32 s21, s36, s60                                // 000000008188: 85153C24
	s_mov_b64 exec, s[20:21]                                   // 00000000818C: BEFE0114
	global_atomic_add_f32 v6, v83, s[8:9] offset:8             // 000000008190: DD348008 00085306
	s_mov_b64 exec, s[36:37]                                   // 000000008198: BEFE0124
	v_mov_b32_e32 v6, v50                                      // 00000000819C: 7E0C0332
	s_mov_b64 s[60:61], 0                                      // 0000000081A0: BEBC0180
	v_readlane_b32 s82, v3, 4                                  // 0000000081A4: D2890052 00010903
	s_and_b32 s82, s82, 0xffffff                               // 0000000081AC: 8652FF52 00FFFFFF
	s_cmp_lt_u32 s82, s66                                      // 0000000081B4: BF0A4252
	s_cselect_b32 s20, s36, s60                                // 0000000081B8: 85143C24
	v_readlane_b32 s82, v3, 5                                  // 0000000081BC: D2890052 00010B03
	s_and_b32 s82, s82, 0xffffff                               // 0000000081C4: 8652FF52 00FFFFFF
	s_cmp_lt_u32 s82, s66                                      // 0000000081CC: BF0A4252
	s_cselect_b32 s21, s36, s60                                // 0000000081D0: 85153C24
	s_mov_b64 exec, s[20:21]                                   // 0000000081D4: BEFE0114
	global_atomic_add_f32 v6, v86, s[8:9] offset:8             // 0000000081D8: DD348008 00085606
	s_mov_b64 exec, s[36:37]                                   // 0000000081E0: BEFE0124
	v_mov_b32_e32 v6, v51                                      // 0000000081E4: 7E0C0333
	s_mov_b64 s[60:61], 0                                      // 0000000081E8: BEBC0180
	v_readlane_b32 s82, v3, 6                                  // 0000000081EC: D2890052 00010D03
	s_and_b32 s82, s82, 0xffffff                               // 0000000081F4: 8652FF52 00FFFFFF
	s_cmp_lt_u32 s82, s66                                      // 0000000081FC: BF0A4252
	s_cselect_b32 s20, s36, s60                                // 000000008200: 85143C24
	v_readlane_b32 s82, v3, 7                                  // 000000008204: D2890052 00010F03
	s_and_b32 s82, s82, 0xffffff                               // 00000000820C: 8652FF52 00FFFFFF
	s_cmp_lt_u32 s82, s66                                      // 000000008214: BF0A4252
	s_cselect_b32 s21, s36, s60                                // 000000008218: 85153C24
	s_mov_b64 exec, s[20:21]                                   // 00000000821C: BEFE0114
	global_atomic_add_f32 v6, v87, s[8:9] offset:8             // 000000008220: DD348008 00085706
	s_mov_b64 exec, s[36:37]                                   // 000000008228: BEFE0124
	v_mov_b32_e32 v6, v52                                      // 00000000822C: 7E0C0334
	s_mov_b64 s[60:61], 0                                      // 000000008230: BEBC0180
	v_readlane_b32 s82, v3, 8                                  // 000000008234: D2890052 00011103
	s_and_b32 s82, s82, 0xffffff                               // 00000000823C: 8652FF52 00FFFFFF
	s_cmp_lt_u32 s82, s66                                      // 000000008244: BF0A4252
	s_cselect_b32 s20, s36, s60                                // 000000008248: 85143C24
	v_readlane_b32 s82, v3, 9                                  // 00000000824C: D2890052 00011303
	s_and_b32 s82, s82, 0xffffff                               // 000000008254: 8652FF52 00FFFFFF
	s_cmp_lt_u32 s82, s66                                      // 00000000825C: BF0A4252
	s_cselect_b32 s21, s36, s60                                // 000000008260: 85153C24
	s_mov_b64 exec, s[20:21]                                   // 000000008264: BEFE0114
	global_atomic_add_f32 v6, v90, s[8:9] offset:8             // 000000008268: DD348008 00085A06
	s_mov_b64 exec, s[36:37]                                   // 000000008270: BEFE0124
	v_mov_b32_e32 v6, v53                                      // 000000008274: 7E0C0335
	s_mov_b64 s[60:61], 0                                      // 000000008278: BEBC0180
	v_readlane_b32 s82, v3, 10                                 // 00000000827C: D2890052 00011503
	s_and_b32 s82, s82, 0xffffff                               // 000000008284: 8652FF52 00FFFFFF
	s_cmp_lt_u32 s82, s66                                      // 00000000828C: BF0A4252
	s_cselect_b32 s20, s36, s60                                // 000000008290: 85143C24
	v_readlane_b32 s82, v3, 11                                 // 000000008294: D2890052 00011703
	s_and_b32 s82, s82, 0xffffff                               // 00000000829C: 8652FF52 00FFFFFF
	s_cmp_lt_u32 s82, s66                                      // 0000000082A4: BF0A4252
	s_cselect_b32 s21, s36, s60                                // 0000000082A8: 85153C24
	s_mov_b64 exec, s[20:21]                                   // 0000000082AC: BEFE0114
	global_atomic_add_f32 v6, v91, s[8:9] offset:8             // 0000000082B0: DD348008 00085B06
	s_mov_b64 exec, s[36:37]                                   // 0000000082B8: BEFE0124
	v_mov_b32_e32 v6, v54                                      // 0000000082BC: 7E0C0336
	s_mov_b64 s[60:61], 0                                      // 0000000082C0: BEBC0180
	v_readlane_b32 s82, v3, 12                                 // 0000000082C4: D2890052 00011903
	s_and_b32 s82, s82, 0xffffff                               // 0000000082CC: 8652FF52 00FFFFFF
	s_cmp_lt_u32 s82, s66                                      // 0000000082D4: BF0A4252
	s_cselect_b32 s20, s36, s60                                // 0000000082D8: 85143C24
	v_readlane_b32 s82, v3, 13                                 // 0000000082DC: D2890052 00011B03
	s_and_b32 s82, s82, 0xffffff                               // 0000000082E4: 8652FF52 00FFFFFF
	s_cmp_lt_u32 s82, s66                                      // 0000000082EC: BF0A4252
	s_cselect_b32 s21, s36, s60                                // 0000000082F0: 85153C24
	s_mov_b64 exec, s[20:21]                                   // 0000000082F4: BEFE0114
	global_atomic_add_f32 v6, v94, s[8:9] offset:8             // 0000000082F8: DD348008 00085E06
	s_mov_b64 exec, s[36:37]                                   // 000000008300: BEFE0124
	v_mov_b32_e32 v6, v55                                      // 000000008304: 7E0C0337
	s_mov_b64 s[60:61], 0                                      // 000000008308: BEBC0180
	v_readlane_b32 s82, v3, 14                                 // 00000000830C: D2890052 00011D03
	s_and_b32 s82, s82, 0xffffff                               // 000000008314: 8652FF52 00FFFFFF
	s_cmp_lt_u32 s82, s66                                      // 00000000831C: BF0A4252
	s_cselect_b32 s20, s36, s60                                // 000000008320: 85143C24
	v_readlane_b32 s82, v3, 15                                 // 000000008324: D2890052 00011F03
	s_and_b32 s82, s82, 0xffffff                               // 00000000832C: 8652FF52 00FFFFFF
	s_cmp_lt_u32 s82, s66                                      // 000000008334: BF0A4252
	s_cselect_b32 s21, s36, s60                                // 000000008338: 85153C24
	s_mov_b64 exec, s[20:21]                                   // 00000000833C: BEFE0114
	global_atomic_add_f32 v6, v95, s[8:9] offset:8             // 000000008340: DD348008 00085F06
	s_mov_b64 exec, s[36:37]                                   // 000000008348: BEFE0124
	v_mov_b32_e32 v6, v56                                      // 00000000834C: 7E0C0338
	s_mov_b64 s[60:61], 0                                      // 000000008350: BEBC0180
	v_readlane_b32 s82, v3, 16                                 // 000000008354: D2890052 00012103
	s_and_b32 s82, s82, 0xffffff                               // 00000000835C: 8652FF52 00FFFFFF
	s_cmp_lt_u32 s82, s66                                      // 000000008364: BF0A4252
	s_cselect_b32 s20, s36, s60                                // 000000008368: 85143C24
	v_readlane_b32 s82, v3, 17                                 // 00000000836C: D2890052 00012303
	s_and_b32 s82, s82, 0xffffff                               // 000000008374: 8652FF52 00FFFFFF
	s_cmp_lt_u32 s82, s66                                      // 00000000837C: BF0A4252
	s_cselect_b32 s21, s36, s60                                // 000000008380: 85153C24
	s_mov_b64 exec, s[20:21]                                   // 000000008384: BEFE0114
	global_atomic_add_f32 v6, v98, s[8:9] offset:8             // 000000008388: DD348008 00086206
	s_mov_b64 exec, s[36:37]                                   // 000000008390: BEFE0124
	v_mov_b32_e32 v6, v57                                      // 000000008394: 7E0C0339
	s_mov_b64 s[60:61], 0                                      // 000000008398: BEBC0180
	v_readlane_b32 s82, v3, 18                                 // 00000000839C: D2890052 00012503
	s_and_b32 s82, s82, 0xffffff                               // 0000000083A4: 8652FF52 00FFFFFF
	s_cmp_lt_u32 s82, s66                                      // 0000000083AC: BF0A4252
	s_cselect_b32 s20, s36, s60                                // 0000000083B0: 85143C24
	v_readlane_b32 s82, v3, 19                                 // 0000000083B4: D2890052 00012703
	s_and_b32 s82, s82, 0xffffff                               // 0000000083BC: 8652FF52 00FFFFFF
	s_cmp_lt_u32 s82, s66                                      // 0000000083C4: BF0A4252
	s_cselect_b32 s21, s36, s60                                // 0000000083C8: 85153C24
	s_mov_b64 exec, s[20:21]                                   // 0000000083CC: BEFE0114
	global_atomic_add_f32 v6, v99, s[8:9] offset:8             // 0000000083D0: DD348008 00086306
	s_mov_b64 exec, s[36:37]                                   // 0000000083D8: BEFE0124
	s_branch label_167B                                        // 0000000083DC: BF820000

00000000000083e0 <label_167B>:
	s_waitcnt vmcnt(0) expcnt(0) lgkmcnt(0)                    // 0000000083E0: BF8C0000
	s_endpgm                                                   // 0000000083E4: BF810000
